;; amdgpu-corpus repo=ROCm/rocSOLVER kind=compiled arch=gfx1250 opt=O3
	.amdgcn_target "amdgcn-amd-amdhsa--gfx1250"
	.amdhsa_code_object_version 6
	.section	.text._ZN9rocsolver6v33100L10reset_infoIiiiEEvPT_T0_T1_S4_,"axG",@progbits,_ZN9rocsolver6v33100L10reset_infoIiiiEEvPT_T0_T1_S4_,comdat
	.globl	_ZN9rocsolver6v33100L10reset_infoIiiiEEvPT_T0_T1_S4_ ; -- Begin function _ZN9rocsolver6v33100L10reset_infoIiiiEEvPT_T0_T1_S4_
	.p2align	8
	.type	_ZN9rocsolver6v33100L10reset_infoIiiiEEvPT_T0_T1_S4_,@function
_ZN9rocsolver6v33100L10reset_infoIiiiEEvPT_T0_T1_S4_: ; @_ZN9rocsolver6v33100L10reset_infoIiiiEEvPT_T0_T1_S4_
; %bb.0:
	s_clause 0x1
	s_load_b32 s2, s[0:1], 0x24
	s_load_b96 s[4:6], s[0:1], 0x8
	s_bfe_u32 s3, ttmp6, 0x4000c
	s_and_b32 s7, ttmp6, 15
	s_add_co_i32 s3, s3, 1
	s_getreg_b32 s8, hwreg(HW_REG_IB_STS2, 6, 4)
	s_mul_i32 s3, ttmp9, s3
	s_delay_alu instid0(SALU_CYCLE_1) | instskip(SKIP_4) | instid1(SALU_CYCLE_1)
	s_add_co_i32 s7, s7, s3
	s_wait_kmcnt 0x0
	s_and_b32 s2, s2, 0xffff
	s_cmp_eq_u32 s8, 0
	s_cselect_b32 s3, ttmp9, s7
	v_mad_u32 v0, s3, s2, v0
	s_mov_b32 s2, exec_lo
	s_delay_alu instid0(VALU_DEP_1)
	v_cmpx_gt_i32_e64 s4, v0
	s_cbranch_execz .LBB0_2
; %bb.1:
	s_load_b64 s[0:1], s[0:1], 0x0
	v_mad_u32 v1, v0, s6, s5
	s_wait_kmcnt 0x0
	global_store_b32 v0, v1, s[0:1] scale_offset
.LBB0_2:
	s_endpgm
	.section	.rodata,"a",@progbits
	.p2align	6, 0x0
	.amdhsa_kernel _ZN9rocsolver6v33100L10reset_infoIiiiEEvPT_T0_T1_S4_
		.amdhsa_group_segment_fixed_size 0
		.amdhsa_private_segment_fixed_size 0
		.amdhsa_kernarg_size 280
		.amdhsa_user_sgpr_count 2
		.amdhsa_user_sgpr_dispatch_ptr 0
		.amdhsa_user_sgpr_queue_ptr 0
		.amdhsa_user_sgpr_kernarg_segment_ptr 1
		.amdhsa_user_sgpr_dispatch_id 0
		.amdhsa_user_sgpr_kernarg_preload_length 0
		.amdhsa_user_sgpr_kernarg_preload_offset 0
		.amdhsa_user_sgpr_private_segment_size 0
		.amdhsa_wavefront_size32 1
		.amdhsa_uses_dynamic_stack 0
		.amdhsa_enable_private_segment 0
		.amdhsa_system_sgpr_workgroup_id_x 1
		.amdhsa_system_sgpr_workgroup_id_y 0
		.amdhsa_system_sgpr_workgroup_id_z 0
		.amdhsa_system_sgpr_workgroup_info 0
		.amdhsa_system_vgpr_workitem_id 0
		.amdhsa_next_free_vgpr 2
		.amdhsa_next_free_sgpr 9
		.amdhsa_named_barrier_count 0
		.amdhsa_reserve_vcc 0
		.amdhsa_float_round_mode_32 0
		.amdhsa_float_round_mode_16_64 0
		.amdhsa_float_denorm_mode_32 3
		.amdhsa_float_denorm_mode_16_64 3
		.amdhsa_fp16_overflow 0
		.amdhsa_memory_ordered 1
		.amdhsa_forward_progress 1
		.amdhsa_inst_pref_size 2
		.amdhsa_round_robin_scheduling 0
		.amdhsa_exception_fp_ieee_invalid_op 0
		.amdhsa_exception_fp_denorm_src 0
		.amdhsa_exception_fp_ieee_div_zero 0
		.amdhsa_exception_fp_ieee_overflow 0
		.amdhsa_exception_fp_ieee_underflow 0
		.amdhsa_exception_fp_ieee_inexact 0
		.amdhsa_exception_int_div_zero 0
	.end_amdhsa_kernel
	.section	.text._ZN9rocsolver6v33100L10reset_infoIiiiEEvPT_T0_T1_S4_,"axG",@progbits,_ZN9rocsolver6v33100L10reset_infoIiiiEEvPT_T0_T1_S4_,comdat
.Lfunc_end0:
	.size	_ZN9rocsolver6v33100L10reset_infoIiiiEEvPT_T0_T1_S4_, .Lfunc_end0-_ZN9rocsolver6v33100L10reset_infoIiiiEEvPT_T0_T1_S4_
                                        ; -- End function
	.set _ZN9rocsolver6v33100L10reset_infoIiiiEEvPT_T0_T1_S4_.num_vgpr, 2
	.set _ZN9rocsolver6v33100L10reset_infoIiiiEEvPT_T0_T1_S4_.num_agpr, 0
	.set _ZN9rocsolver6v33100L10reset_infoIiiiEEvPT_T0_T1_S4_.numbered_sgpr, 9
	.set _ZN9rocsolver6v33100L10reset_infoIiiiEEvPT_T0_T1_S4_.num_named_barrier, 0
	.set _ZN9rocsolver6v33100L10reset_infoIiiiEEvPT_T0_T1_S4_.private_seg_size, 0
	.set _ZN9rocsolver6v33100L10reset_infoIiiiEEvPT_T0_T1_S4_.uses_vcc, 0
	.set _ZN9rocsolver6v33100L10reset_infoIiiiEEvPT_T0_T1_S4_.uses_flat_scratch, 0
	.set _ZN9rocsolver6v33100L10reset_infoIiiiEEvPT_T0_T1_S4_.has_dyn_sized_stack, 0
	.set _ZN9rocsolver6v33100L10reset_infoIiiiEEvPT_T0_T1_S4_.has_recursion, 0
	.set _ZN9rocsolver6v33100L10reset_infoIiiiEEvPT_T0_T1_S4_.has_indirect_call, 0
	.section	.AMDGPU.csdata,"",@progbits
; Kernel info:
; codeLenInByte = 136
; TotalNumSgprs: 9
; NumVgprs: 2
; ScratchSize: 0
; MemoryBound: 0
; FloatMode: 240
; IeeeMode: 1
; LDSByteSize: 0 bytes/workgroup (compile time only)
; SGPRBlocks: 0
; VGPRBlocks: 0
; NumSGPRsForWavesPerEU: 9
; NumVGPRsForWavesPerEU: 2
; NamedBarCnt: 0
; Occupancy: 16
; WaveLimiterHint : 0
; COMPUTE_PGM_RSRC2:SCRATCH_EN: 0
; COMPUTE_PGM_RSRC2:USER_SGPR: 2
; COMPUTE_PGM_RSRC2:TRAP_HANDLER: 0
; COMPUTE_PGM_RSRC2:TGID_X_EN: 1
; COMPUTE_PGM_RSRC2:TGID_Y_EN: 0
; COMPUTE_PGM_RSRC2:TGID_Z_EN: 0
; COMPUTE_PGM_RSRC2:TIDIG_COMP_CNT: 0
	.section	.text._ZN9rocsolver6v33100L10bdsqr_initIffEEviPT0_lS3_lPiiS2_S2_S4_S3_lS4_,"axG",@progbits,_ZN9rocsolver6v33100L10bdsqr_initIffEEviPT0_lS3_lPiiS2_S2_S4_S3_lS4_,comdat
	.globl	_ZN9rocsolver6v33100L10bdsqr_initIffEEviPT0_lS3_lPiiS2_S2_S4_S3_lS4_ ; -- Begin function _ZN9rocsolver6v33100L10bdsqr_initIffEEviPT0_lS3_lPiiS2_S2_S4_S3_lS4_
	.p2align	8
	.type	_ZN9rocsolver6v33100L10bdsqr_initIffEEviPT0_lS3_lPiiS2_S2_S4_S3_lS4_,@function
_ZN9rocsolver6v33100L10bdsqr_initIffEEviPT0_lS3_lPiiS2_S2_S4_S3_lS4_: ; @_ZN9rocsolver6v33100L10bdsqr_initIffEEviPT0_lS3_lPiiS2_S2_S4_S3_lS4_
; %bb.0:
	s_clause 0x1
	s_load_b32 s2, s[0:1], 0x0
	s_load_b256 s[4:11], s[0:1], 0x8
	s_bfe_u32 s3, ttmp6, 0x40010
	s_bfe_u32 s12, ttmp6, 0x40004
	s_add_co_i32 s3, s3, 1
	s_getreg_b32 s13, hwreg(HW_REG_IB_STS2, 6, 4)
	s_mul_i32 s3, ttmp7, s3
	s_delay_alu instid0(SALU_CYCLE_1)
	s_add_co_i32 s12, s12, s3
	s_wait_kmcnt 0x0
	s_ashr_i32 s3, s2, 31
	s_cmp_eq_u32 s13, 0
	v_cmp_gt_i64_e64 s22, s[2:3], 1
	s_cselect_b32 s14, ttmp7, s12
	s_lshl_b64 s[12:13], s[2:3], 2
	s_ashr_i32 s15, s14, 31
	s_delay_alu instid0(SALU_CYCLE_1) | instskip(NEXT) | instid1(SALU_CYCLE_1)
	s_mul_u64 s[6:7], s[6:7], s[14:15]
	s_lshl_b64 s[6:7], s[6:7], 2
	s_delay_alu instid0(SALU_CYCLE_1) | instskip(NEXT) | instid1(SALU_CYCLE_1)
	s_add_nc_u64 s[18:19], s[4:5], s[6:7]
	s_add_nc_u64 s[12:13], s[18:19], s[12:13]
	s_delay_alu instid0(SALU_CYCLE_1)
	s_add_nc_u64 s[4:5], s[12:13], -4
	s_clause 0x1
	s_load_b32 s23, s[18:19], 0x0
	s_load_b32 s24, s[4:5], 0x0
	s_load_b64 s[16:17], s[0:1], 0x28
	s_wait_xcnt 0x0
	s_mul_u64 s[4:5], s[10:11], s[14:15]
	s_delay_alu instid0(SALU_CYCLE_1)
	s_lshl_b64 s[6:7], s[4:5], 2
	v_cmp_lt_i64_e64 s5, s[2:3], 2
	s_add_nc_u64 s[20:21], s[8:9], s[6:7]
	s_mov_b32 s4, 1
	s_wait_kmcnt 0x0
	s_cmp_ge_f32 s23, s24
	s_cselect_b32 s3, -1, 0
	s_delay_alu instid0(SALU_CYCLE_1)
	s_and_b32 s6, s3, exec_lo
	s_cselect_b32 s6, s23, s24
	s_and_b32 vcc_lo, exec_lo, s5
	s_and_b32 s23, s6, 0x7fffffff
	s_cbranch_vccnz .LBB1_3
; %bb.1:
	s_add_co_i32 s5, s2, -2
	s_mov_b32 s6, s23
.LBB1_2:                                ; =>This Inner Loop Header: Depth=1
	s_and_b32 s7, s3, exec_lo
	s_cselect_b32 s8, s4, s5
	s_add_co_i32 s7, s4, -1
	s_and_b32 s9, s3, exec_lo
	s_cselect_b32 s10, s7, s5
	s_ashr_i32 s9, s8, 31
	s_ashr_i32 s11, s10, 31
	s_lshl_b64 s[8:9], s[8:9], 2
	s_lshl_b64 s[10:11], s[10:11], 2
	s_add_nc_u64 s[8:9], s[18:19], s[8:9]
	s_add_nc_u64 s[10:11], s[20:21], s[10:11]
	s_load_b32 s8, s[8:9], 0x0
	s_wait_kmcnt 0x0
	s_bitset0_b32 s8, 31
	s_load_b32 s7, s[10:11], 0x0
	s_wait_kmcnt 0x0
	s_bitset0_b32 s7, 31
	s_delay_alu instid0(SALU_CYCLE_1) | instskip(NEXT) | instid1(SALU_CYCLE_3)
	s_add_f32 s7, s6, s7
	v_div_scale_f32 v0, null, s7, s7, s6
	v_div_scale_f32 v3, vcc_lo, s6, s7, s6
	s_delay_alu instid0(VALU_DEP_2)
	v_rcp_f32_e32 v1, v0
	v_nop
	v_xor_b32_e32 v0, 0x80000000, v0
	s_delay_alu instid0(TRANS32_DEP_1) | instid1(VALU_DEP_1)
	v_fma_f32 v2, v0, v1, 1.0
	s_delay_alu instid0(VALU_DEP_1) | instskip(NEXT) | instid1(VALU_DEP_1)
	v_fmac_f32_e32 v1, v2, v1
	v_mul_f32_e32 v2, v3, v1
	s_delay_alu instid0(VALU_DEP_1) | instskip(NEXT) | instid1(VALU_DEP_1)
	v_fma_f32 v4, v0, v2, v3
	v_fmac_f32_e32 v2, v4, v1
	s_delay_alu instid0(VALU_DEP_1) | instskip(NEXT) | instid1(VALU_DEP_1)
	v_fmac_f32_e32 v3, v0, v2
	v_div_fmas_f32 v0, v3, v1, v2
	s_delay_alu instid0(VALU_DEP_1) | instskip(NEXT) | instid1(VALU_DEP_1)
	v_div_fixup_f32 v0, v0, s7, s6
	v_readfirstlane_b32 s6, v0
	s_mul_f32 s6, s8, s6
	s_delay_alu instid0(SALU_CYCLE_3)
	s_cmp_lt_f32 s6, s23
	s_cselect_b32 s23, s6, s23
	s_add_co_i32 s4, s4, 1
	s_add_co_i32 s5, s5, -1
	s_cmp_lg_u32 s4, s2
	s_cbranch_scc1 .LBB1_2
.LBB1_3:
	v_cvt_f64_i32_e32 v[0:1], s2
	s_load_b256 s[4:11], s[0:1], 0x40
	s_lshl_b32 s25, s2, 1
	s_add_co_i32 s3, s2, -1
	s_mul_i32 s26, s25, s14
	s_load_b96 s[28:30], s[0:1], 0x30
	s_ashr_i32 s27, s26, 31
	s_mov_b32 s24, 0
	s_lshl_b64 s[26:27], s[26:27], 2
	s_wait_kmcnt 0x0
	s_mul_u64 s[8:9], s[8:9], s[14:15]
	s_delay_alu instid0(SALU_CYCLE_1) | instskip(SKIP_2) | instid1(VALU_DEP_1)
	s_lshl_b64 s[34:35], s[8:9], 2
	s_mul_f32 s0, s30, s23
	s_cvt_f32_i32 s1, s28
	v_cmp_gt_f64_e32 vcc_lo, 0x10000000, v[0:1]
	s_and_b32 s8, vcc_lo, exec_lo
	s_cselect_b32 s8, 0x100, 0
	s_delay_alu instid0(SALU_CYCLE_1) | instskip(SKIP_1) | instid1(VALU_DEP_1)
	v_ldexp_f64 v[0:1], v[0:1], s8
	s_cselect_b32 s8, 0xffffff80, 0
	v_rsq_f64_e32 v[2:3], v[0:1]
	v_cmp_class_f64_e64 vcc_lo, v[0:1], 0x260
	s_delay_alu instid0(TRANS32_DEP_1) | instskip(SKIP_1) | instid1(VALU_DEP_1)
	v_mul_f64_e32 v[4:5], v[0:1], v[2:3]
	v_mul_f64_e32 v[2:3], 0.5, v[2:3]
	v_fma_f64 v[6:7], -v[2:3], v[4:5], 0.5
	s_delay_alu instid0(VALU_DEP_1) | instskip(SKIP_1) | instid1(VALU_DEP_2)
	v_fmac_f64_e32 v[4:5], v[4:5], v[6:7]
	v_fmac_f64_e32 v[2:3], v[2:3], v[6:7]
	v_fma_f64 v[6:7], -v[4:5], v[4:5], v[0:1]
	s_delay_alu instid0(VALU_DEP_1) | instskip(NEXT) | instid1(VALU_DEP_1)
	v_fmac_f64_e32 v[4:5], v[6:7], v[2:3]
	v_fma_f64 v[6:7], -v[4:5], v[4:5], v[0:1]
	s_delay_alu instid0(VALU_DEP_1) | instskip(SKIP_1) | instid1(VALU_DEP_2)
	v_fmac_f64_e32 v[4:5], v[6:7], v[2:3]
	v_cndmask_b32_e64 v6, 0, 1, s22
	v_ldexp_f64 v[2:3], v[4:5], s8
	s_add_nc_u64 s[8:9], s[4:5], s[26:27]
	s_add_nc_u64 s[4:5], s[6:7], s[34:35]
	s_mov_b32 s26, 0
	s_mov_b32 s6, 0
	s_delay_alu instid0(VALU_DEP_1) | instskip(NEXT) | instid1(VALU_DEP_1)
	v_dual_cndmask_b32 v1, v3, v1 :: v_dual_cndmask_b32 v0, v2, v0
	v_cvt_f32_f64_e32 v1, v[0:1]
	s_delay_alu instid0(VALU_DEP_1) | instskip(SKIP_1) | instid1(VALU_DEP_2)
	v_div_scale_f32 v0, null, v1, v1, s0
	v_div_scale_f32 v4, vcc_lo, s0, v1, s0
	v_rcp_f32_e32 v2, v0
	v_nop
	v_xor_b32_e32 v0, 0x80000000, v0
	s_delay_alu instid0(TRANS32_DEP_1) | instid1(VALU_DEP_1)
	v_fma_f32 v3, v0, v2, 1.0
	s_delay_alu instid0(VALU_DEP_1) | instskip(NEXT) | instid1(VALU_DEP_1)
	v_fmac_f32_e32 v2, v3, v2
	v_mul_f32_e32 v3, v4, v2
	s_delay_alu instid0(VALU_DEP_1) | instskip(NEXT) | instid1(VALU_DEP_1)
	v_fma_f32 v5, v0, v3, v4
	v_fmac_f32_e32 v3, v5, v2
	s_delay_alu instid0(VALU_DEP_1) | instskip(NEXT) | instid1(VALU_DEP_1)
	v_dual_fmac_f32 v4, v0, v3 :: v_dual_mov_b32 v0, 0
	v_div_fmas_f32 v2, v4, v2, v3
	v_mov_b32_e32 v4, s23
	s_delay_alu instid0(VALU_DEP_2)
	v_div_fixup_f32 v1, v2, v1, s0
	s_mul_f32 s0, s29, s1
	s_delay_alu instid0(VALU_DEP_1) | instid1(SALU_CYCLE_3)
	v_cmp_gt_f32_e32 vcc_lo, s0, v1
	v_cndmask_b32_e64 v5, v1, s0, vcc_lo
	s_and_not1_b32 vcc_lo, exec_lo, s22
	global_store_b64 v0, v[4:5], s[4:5]
	s_cbranch_vccnz .LBB1_15
; %bb.4:
	s_mov_b32 s23, 0
	s_delay_alu instid0(SALU_CYCLE_1)
	s_mov_b32 s6, s23
	s_mov_b32 s22, s23
	s_branch .LBB1_7
.LBB1_5:                                ;   in Loop: Header=BB1_7 Depth=1
	s_mov_b32 s22, s0
.LBB1_6:                                ;   in Loop: Header=BB1_7 Depth=1
	s_wait_loadcnt 0x0
	v_and_b32_e32 v1, 0x7fffffff, v1
	s_wait_xcnt 0x0
	v_cmp_nlg_f32_e64 s0, 0x7f800000, v2
	s_delay_alu instid0(VALU_DEP_2) | instskip(SKIP_1) | instid1(SALU_CYCLE_1)
	v_cmp_nlg_f32_e32 vcc_lo, 0x7f800000, v1
	s_or_b32 s0, vcc_lo, s0
	s_or_b32 s26, s0, s26
	s_cmp_eq_u32 s22, s3
	s_cbranch_scc1 .LBB1_15
.LBB1_7:                                ; =>This Inner Loop Header: Depth=1
	s_lshl_b32 s0, s22, 2
	s_delay_alu instid0(SALU_CYCLE_1) | instskip(NEXT) | instid1(SALU_CYCLE_1)
	s_or_b32 s1, s0, 3
	s_cmp_ge_i32 s1, s25
	s_cbranch_scc1 .LBB1_9
; %bb.8:                                ;   in Loop: Header=BB1_7 Depth=1
	s_mov_b32 s1, s23
	v_dual_mov_b32 v1, v0 :: v_dual_mov_b32 v2, v0
	v_mov_b32_e32 v3, v0
	s_lshl_b64 s[0:1], s[0:1], 2
	s_delay_alu instid0(SALU_CYCLE_1)
	s_add_nc_u64 s[0:1], s[8:9], s[0:1]
	global_store_b128 v0, v[0:3], s[0:1]
	global_wb scope:SCOPE_DEV
	s_wait_storecnt 0x0
	global_inv scope:SCOPE_DEV
.LBB1_9:                                ;   in Loop: Header=BB1_7 Depth=1
	s_wait_xcnt 0x0
	v_mov_b32_e32 v2, s22
	s_mov_b32 s1, -1
                                        ; implicit-def: $sgpr0
	s_clause 0x1
	global_load_b32 v3, v2, s[20:21] scale_offset
	global_load_b32 v1, v2, s[18:19] scale_offset
	s_wait_loadcnt 0x1
	s_wait_xcnt 0x0
	v_and_b32_e32 v2, 0x7fffffff, v3
	s_delay_alu instid0(VALU_DEP_1)
	v_cmp_lt_f32_e32 vcc_lo, v2, v5
	s_cbranch_vccnz .LBB1_11
; %bb.10:                               ;   in Loop: Header=BB1_7 Depth=1
	s_add_co_i32 s0, s22, 1
	s_mov_b32 s1, 0
.LBB1_11:                               ;   in Loop: Header=BB1_7 Depth=1
	s_delay_alu instid0(SALU_CYCLE_1)
	s_and_not1_b32 vcc_lo, exec_lo, s1
	s_cbranch_vccnz .LBB1_5
; %bb.12:                               ;   in Loop: Header=BB1_7 Depth=1
	s_lshl_b64 s[0:1], s[22:23], 2
	s_cmp_ge_i32 s6, s22
	s_add_nc_u64 s[0:1], s[20:21], s[0:1]
	global_store_b32 v0, v0, s[0:1]
	s_cbranch_scc1 .LBB1_14
; %bb.13:                               ;   in Loop: Header=BB1_7 Depth=1
	s_mov_b32 s7, s22
	s_wait_xcnt 0x0
	s_lshl_b32 s0, s24, 2
	v_mov_b64_e32 v[8:9], s[6:7]
	s_ashr_i32 s1, s0, 31
	s_add_co_i32 s24, s24, 1
	s_lshl_b64 s[0:1], s[0:1], 2
	s_delay_alu instid0(SALU_CYCLE_1)
	s_add_nc_u64 s[0:1], s[8:9], s[0:1]
	global_store_b64 v0, v[8:9], s[0:1] offset:4
.LBB1_14:                               ;   in Loop: Header=BB1_7 Depth=1
	s_add_co_i32 s22, s22, 1
	s_delay_alu instid0(SALU_CYCLE_1)
	s_mov_b32 s6, s22
	s_branch .LBB1_6
.LBB1_15:
	v_mov_b32_e32 v1, 0
	s_cmp_lt_i32 s6, s3
	global_load_b32 v0, v1, s[12:13] offset:-4
	s_cbranch_scc0 .LBB1_17
; %bb.16:
	s_lshl_b32 s0, s24, 2
	v_dual_mov_b32 v2, s6 :: v_dual_mov_b32 v3, s3
	s_ashr_i32 s1, s0, 31
	s_delay_alu instid0(SALU_CYCLE_1) | instskip(NEXT) | instid1(SALU_CYCLE_1)
	s_lshl_b64 s[0:1], s[0:1], 2
	s_add_nc_u64 s[0:1], s[8:9], s[0:1]
	global_store_b64 v1, v[2:3], s[0:1] offset:4
.LBB1_17:
	s_wait_loadcnt 0x0
	v_and_b32_e32 v0, 0x7fffffff, v0
	s_delay_alu instid0(VALU_DEP_1) | instskip(SKIP_2) | instid1(SALU_CYCLE_1)
	v_cmp_nlg_f32_e32 vcc_lo, 0x7f800000, v0
	s_wait_xcnt 0x0
	s_or_b32 s0, vcc_lo, s26
	s_and_not1_b32 vcc_lo, exec_lo, s0
	s_mov_b32 s0, -1
	s_cbranch_vccz .LBB1_22
; %bb.18:
	s_add_co_i32 s1, s24, 1
	s_lshl_b64 s[6:7], s[14:15], 2
	s_cvt_f32_i32 s0, s1
	v_mov_b32_e32 v1, 0
	s_cmp_lt_i32 s24, 0
	s_add_nc_u64 s[6:7], s[16:17], s[6:7]
	v_mov_b32_e32 v0, s0
	s_mov_b32 s0, 0
	s_clause 0x1
	global_store_b64 v1, v[0:1], s[4:5] offset:8
	global_store_b32 v1, v1, s[6:7]
	s_cbranch_scc1 .LBB1_22
; %bb.19:
	v_mov_b32_e32 v3, 0
	s_wait_xcnt 0x1
	s_mov_b32 s4, 0
.LBB1_20:                               ; =>This Inner Loop Header: Depth=1
	v_mov_b32_e32 v2, s1
	s_wait_xcnt 0x0
	global_atomic_cmpswap_b32 v3, v1, v[2:3], s[10:11] offset:4 th:TH_ATOMIC_RETURN scope:SCOPE_DEV
	s_wait_loadcnt 0x0
	v_cmp_lt_i32_e32 vcc_lo, s24, v3
	s_or_b32 s4, vcc_lo, s4
	s_wait_xcnt 0x0
	s_and_not1_b32 exec_lo, exec_lo, s4
	s_cbranch_execnz .LBB1_20
; %bb.21:
	s_or_b32 exec_lo, exec_lo, s4
.LBB1_22:
	s_delay_alu instid0(SALU_CYCLE_1)
	s_and_not1_b32 vcc_lo, exec_lo, s0
	s_cbranch_vccnz .LBB1_28
; %bb.23:
	v_cmp_ne_u32_e32 vcc_lo, 1, v6
	s_cbranch_vccnz .LBB1_26
; %bb.24:
	s_wait_xcnt 0x0
	v_dual_mov_b32 v0, 0 :: v_dual_mov_b32 v1, 0x7fc00000
.LBB1_25:                               ; =>This Inner Loop Header: Depth=1
	s_add_co_i32 s3, s3, -1
	s_clause 0x1
	global_store_b32 v0, v1, s[18:19]
	global_store_b32 v0, v1, s[20:21]
	s_wait_xcnt 0x1
	s_add_nc_u64 s[18:19], s[18:19], 4
	s_cmp_eq_u32 s3, 0
	s_wait_xcnt 0x0
	s_add_nc_u64 s[20:21], s[20:21], 4
	s_cbranch_scc0 .LBB1_25
.LBB1_26:
	s_mov_b32 s0, exec_lo
	s_wait_xcnt 0x1
	v_dual_mov_b32 v0, 0 :: v_dual_mov_b32 v3, s2
	s_wait_xcnt 0x0
	v_mbcnt_lo_u32_b32 v1, s0, 0
	v_mov_b32_e32 v2, 0x7fc00000
	s_lshl_b64 s[4:5], s[14:15], 2
	v_mov_b32_e32 v4, 2
	s_add_nc_u64 s[6:7], s[16:17], s[4:5]
	s_add_nc_u64 s[2:3], s[10:11], s[4:5]
	s_clause 0x2
	global_store_b32 v0, v2, s[12:13] offset:-4
	global_store_b32 v0, v3, s[6:7]
	global_store_b32 v0, v4, s[2:3] offset:8
	s_mov_b32 s1, exec_lo
	s_wait_xcnt 0x0
	v_cmpx_eq_u32_e32 0, v1
	s_cbranch_execz .LBB1_28
; %bb.27:
	s_bcnt1_i32_b32 s0, s0
	s_delay_alu instid0(SALU_CYCLE_1)
	v_mov_b32_e32 v1, s0
	global_atomic_add_u32 v0, v1, s[10:11] scope:SCOPE_DEV
.LBB1_28:
	s_endpgm
	.section	.rodata,"a",@progbits
	.p2align	6, 0x0
	.amdhsa_kernel _ZN9rocsolver6v33100L10bdsqr_initIffEEviPT0_lS3_lPiiS2_S2_S4_S3_lS4_
		.amdhsa_group_segment_fixed_size 0
		.amdhsa_private_segment_fixed_size 0
		.amdhsa_kernarg_size 96
		.amdhsa_user_sgpr_count 2
		.amdhsa_user_sgpr_dispatch_ptr 0
		.amdhsa_user_sgpr_queue_ptr 0
		.amdhsa_user_sgpr_kernarg_segment_ptr 1
		.amdhsa_user_sgpr_dispatch_id 0
		.amdhsa_user_sgpr_kernarg_preload_length 0
		.amdhsa_user_sgpr_kernarg_preload_offset 0
		.amdhsa_user_sgpr_private_segment_size 0
		.amdhsa_wavefront_size32 1
		.amdhsa_uses_dynamic_stack 0
		.amdhsa_enable_private_segment 0
		.amdhsa_system_sgpr_workgroup_id_x 1
		.amdhsa_system_sgpr_workgroup_id_y 1
		.amdhsa_system_sgpr_workgroup_id_z 0
		.amdhsa_system_sgpr_workgroup_info 0
		.amdhsa_system_vgpr_workitem_id 0
		.amdhsa_next_free_vgpr 10
		.amdhsa_next_free_sgpr 36
		.amdhsa_named_barrier_count 0
		.amdhsa_reserve_vcc 1
		.amdhsa_float_round_mode_32 0
		.amdhsa_float_round_mode_16_64 0
		.amdhsa_float_denorm_mode_32 3
		.amdhsa_float_denorm_mode_16_64 3
		.amdhsa_fp16_overflow 0
		.amdhsa_memory_ordered 1
		.amdhsa_forward_progress 1
		.amdhsa_inst_pref_size 13
		.amdhsa_round_robin_scheduling 0
		.amdhsa_exception_fp_ieee_invalid_op 0
		.amdhsa_exception_fp_denorm_src 0
		.amdhsa_exception_fp_ieee_div_zero 0
		.amdhsa_exception_fp_ieee_overflow 0
		.amdhsa_exception_fp_ieee_underflow 0
		.amdhsa_exception_fp_ieee_inexact 0
		.amdhsa_exception_int_div_zero 0
	.end_amdhsa_kernel
	.section	.text._ZN9rocsolver6v33100L10bdsqr_initIffEEviPT0_lS3_lPiiS2_S2_S4_S3_lS4_,"axG",@progbits,_ZN9rocsolver6v33100L10bdsqr_initIffEEviPT0_lS3_lPiiS2_S2_S4_S3_lS4_,comdat
.Lfunc_end1:
	.size	_ZN9rocsolver6v33100L10bdsqr_initIffEEviPT0_lS3_lPiiS2_S2_S4_S3_lS4_, .Lfunc_end1-_ZN9rocsolver6v33100L10bdsqr_initIffEEviPT0_lS3_lPiiS2_S2_S4_S3_lS4_
                                        ; -- End function
	.set _ZN9rocsolver6v33100L10bdsqr_initIffEEviPT0_lS3_lPiiS2_S2_S4_S3_lS4_.num_vgpr, 10
	.set _ZN9rocsolver6v33100L10bdsqr_initIffEEviPT0_lS3_lPiiS2_S2_S4_S3_lS4_.num_agpr, 0
	.set _ZN9rocsolver6v33100L10bdsqr_initIffEEviPT0_lS3_lPiiS2_S2_S4_S3_lS4_.numbered_sgpr, 36
	.set _ZN9rocsolver6v33100L10bdsqr_initIffEEviPT0_lS3_lPiiS2_S2_S4_S3_lS4_.num_named_barrier, 0
	.set _ZN9rocsolver6v33100L10bdsqr_initIffEEviPT0_lS3_lPiiS2_S2_S4_S3_lS4_.private_seg_size, 0
	.set _ZN9rocsolver6v33100L10bdsqr_initIffEEviPT0_lS3_lPiiS2_S2_S4_S3_lS4_.uses_vcc, 1
	.set _ZN9rocsolver6v33100L10bdsqr_initIffEEviPT0_lS3_lPiiS2_S2_S4_S3_lS4_.uses_flat_scratch, 0
	.set _ZN9rocsolver6v33100L10bdsqr_initIffEEviPT0_lS3_lPiiS2_S2_S4_S3_lS4_.has_dyn_sized_stack, 0
	.set _ZN9rocsolver6v33100L10bdsqr_initIffEEviPT0_lS3_lPiiS2_S2_S4_S3_lS4_.has_recursion, 0
	.set _ZN9rocsolver6v33100L10bdsqr_initIffEEviPT0_lS3_lPiiS2_S2_S4_S3_lS4_.has_indirect_call, 0
	.section	.AMDGPU.csdata,"",@progbits
; Kernel info:
; codeLenInByte = 1652
; TotalNumSgprs: 38
; NumVgprs: 10
; ScratchSize: 0
; MemoryBound: 0
; FloatMode: 240
; IeeeMode: 1
; LDSByteSize: 0 bytes/workgroup (compile time only)
; SGPRBlocks: 0
; VGPRBlocks: 0
; NumSGPRsForWavesPerEU: 38
; NumVGPRsForWavesPerEU: 10
; NamedBarCnt: 0
; Occupancy: 16
; WaveLimiterHint : 0
; COMPUTE_PGM_RSRC2:SCRATCH_EN: 0
; COMPUTE_PGM_RSRC2:USER_SGPR: 2
; COMPUTE_PGM_RSRC2:TRAP_HANDLER: 0
; COMPUTE_PGM_RSRC2:TGID_X_EN: 1
; COMPUTE_PGM_RSRC2:TGID_Y_EN: 1
; COMPUTE_PGM_RSRC2:TGID_Z_EN: 0
; COMPUTE_PGM_RSRC2:TIDIG_COMP_CNT: 0
	.section	.text._ZN9rocsolver6v33100L11swap_kernelIfiEEvT0_PT_S2_S4_S2_,"axG",@progbits,_ZN9rocsolver6v33100L11swap_kernelIfiEEvT0_PT_S2_S4_S2_,comdat
	.globl	_ZN9rocsolver6v33100L11swap_kernelIfiEEvT0_PT_S2_S4_S2_ ; -- Begin function _ZN9rocsolver6v33100L11swap_kernelIfiEEvT0_PT_S2_S4_S2_
	.p2align	8
	.type	_ZN9rocsolver6v33100L11swap_kernelIfiEEvT0_PT_S2_S4_S2_,@function
_ZN9rocsolver6v33100L11swap_kernelIfiEEvT0_PT_S2_S4_S2_: ; @_ZN9rocsolver6v33100L11swap_kernelIfiEEvT0_PT_S2_S4_S2_
; %bb.0:
	s_load_b32 s12, s[0:1], 0x0
	s_wait_kmcnt 0x0
	s_cmp_lt_i32 s12, 1
	s_cbranch_scc1 .LBB2_10
; %bb.1:
	s_clause 0x2
	s_load_b32 s2, s[0:1], 0x34
	s_load_b96 s[4:6], s[0:1], 0x8
	s_load_b96 s[8:10], s[0:1], 0x18
	s_bfe_u32 s3, ttmp6, 0x4000c
	s_wait_xcnt 0x0
	s_load_b32 s0, s[0:1], 0x28
	s_add_co_i32 s3, s3, 1
	s_wait_xcnt 0x0
	s_and_b32 s1, ttmp6, 15
	s_mul_i32 s3, ttmp9, s3
	s_getreg_b32 s7, hwreg(HW_REG_IB_STS2, 6, 4)
	s_add_co_i32 s1, s1, s3
	s_wait_kmcnt 0x0
	s_and_b32 s2, s2, 0xffff
	s_cmp_eq_u32 s7, 0
	s_cselect_b32 s1, ttmp9, s1
	s_cmp_eq_u32 s6, 1
	v_mad_u32 v0, s1, s2, v0
	s_cselect_b32 s1, -1, 0
	s_cmp_eq_u32 s10, 1
	s_mul_i32 s2, s0, s2
	s_cselect_b32 s3, -1, 0
	s_delay_alu instid0(SALU_CYCLE_1) | instskip(NEXT) | instid1(SALU_CYCLE_1)
	s_and_b32 s1, s1, s3
	s_and_b32 vcc_lo, exec_lo, s1
	s_mov_b32 s1, -1
	s_delay_alu instid0(VALU_DEP_1)
	v_cmp_gt_i32_e64 s0, s12, v0
	s_cbranch_vccnz .LBB2_6
; %bb.2:
	s_and_saveexec_b32 s1, s0
	s_cbranch_execz .LBB2_5
; %bb.3:
	v_ashrrev_i32_e32 v1, 31, v0
	s_ashr_i32 s7, s6, 31
	s_ashr_i32 s11, s10, 31
	;; [unrolled: 1-line block ×3, first 2 shown]
	s_delay_alu instid0(SALU_CYCLE_1)
	s_mul_u64 s[14:15], s[6:7], s[2:3]
	v_mul_u64_e32 v[2:3], s[10:11], v[0:1]
	v_mul_u64_e32 v[4:5], s[6:7], v[0:1]
	v_mov_b32_e32 v1, v0
	s_mul_u64 s[10:11], s[10:11], s[2:3]
	s_mov_b32 s3, 0
	s_lshl_b64 s[6:7], s[10:11], 2
	s_lshl_b64 s[10:11], s[14:15], 2
	s_delay_alu instid0(VALU_DEP_3) | instskip(NEXT) | instid1(VALU_DEP_3)
	v_lshl_add_u64 v[2:3], v[2:3], 2, s[8:9]
	v_lshl_add_u64 v[4:5], v[4:5], 2, s[4:5]
.LBB2_4:                                ; =>This Inner Loop Header: Depth=1
	global_load_b32 v6, v[4:5], off
	global_load_b32 v7, v[2:3], off
	v_add_nc_u32_e32 v1, s2, v1
	s_wait_loadcnt 0x1
	global_store_b32 v[2:3], v6, off
	s_wait_loadcnt 0x0
	global_store_b32 v[4:5], v7, off
	v_cmp_le_i32_e32 vcc_lo, s12, v1
	s_wait_xcnt 0x1
	v_add_nc_u64_e32 v[2:3], s[6:7], v[2:3]
	s_wait_xcnt 0x0
	v_add_nc_u64_e32 v[4:5], s[10:11], v[4:5]
	s_or_b32 s3, vcc_lo, s3
	s_delay_alu instid0(SALU_CYCLE_1)
	s_and_not1_b32 exec_lo, exec_lo, s3
	s_cbranch_execnz .LBB2_4
.LBB2_5:
	s_or_b32 exec_lo, exec_lo, s1
	s_mov_b32 s1, 0
.LBB2_6:
	s_delay_alu instid0(SALU_CYCLE_1)
	s_and_not1_b32 vcc_lo, exec_lo, s1
	s_cbranch_vccnz .LBB2_10
; %bb.7:
	s_and_saveexec_b32 s1, s0
	s_cbranch_execz .LBB2_10
; %bb.8:
	v_ashrrev_i32_e32 v1, 31, v0
	s_ashr_i32 s3, s2, 31
	s_delay_alu instid0(SALU_CYCLE_1) | instskip(SKIP_1) | instid1(VALU_DEP_1)
	s_lshl_b64 s[0:1], s[2:3], 2
	s_mov_b32 s3, 0
	v_lshlrev_b64_e32 v[2:3], 2, v[0:1]
.LBB2_9:                                ; =>This Inner Loop Header: Depth=1
	s_delay_alu instid0(VALU_DEP_1)
	v_add_nc_u64_e32 v[4:5], s[4:5], v[2:3]
	v_add_nc_u64_e32 v[6:7], s[8:9], v[2:3]
	v_add_nc_u32_e32 v0, s2, v0
	v_add_nc_u64_e32 v[2:3], s[0:1], v[2:3]
	global_load_b32 v1, v[4:5], off
	global_load_b32 v8, v[6:7], off
	v_cmp_le_i32_e32 vcc_lo, s12, v0
	s_wait_loadcnt 0x1
	global_store_b32 v[6:7], v1, off
	s_wait_loadcnt 0x0
	global_store_b32 v[4:5], v8, off
	s_or_b32 s3, vcc_lo, s3
	s_wait_xcnt 0x0
	s_and_not1_b32 exec_lo, exec_lo, s3
	s_cbranch_execnz .LBB2_9
.LBB2_10:
	s_endpgm
	.section	.rodata,"a",@progbits
	.p2align	6, 0x0
	.amdhsa_kernel _ZN9rocsolver6v33100L11swap_kernelIfiEEvT0_PT_S2_S4_S2_
		.amdhsa_group_segment_fixed_size 0
		.amdhsa_private_segment_fixed_size 0
		.amdhsa_kernarg_size 296
		.amdhsa_user_sgpr_count 2
		.amdhsa_user_sgpr_dispatch_ptr 0
		.amdhsa_user_sgpr_queue_ptr 0
		.amdhsa_user_sgpr_kernarg_segment_ptr 1
		.amdhsa_user_sgpr_dispatch_id 0
		.amdhsa_user_sgpr_kernarg_preload_length 0
		.amdhsa_user_sgpr_kernarg_preload_offset 0
		.amdhsa_user_sgpr_private_segment_size 0
		.amdhsa_wavefront_size32 1
		.amdhsa_uses_dynamic_stack 0
		.amdhsa_enable_private_segment 0
		.amdhsa_system_sgpr_workgroup_id_x 1
		.amdhsa_system_sgpr_workgroup_id_y 0
		.amdhsa_system_sgpr_workgroup_id_z 0
		.amdhsa_system_sgpr_workgroup_info 0
		.amdhsa_system_vgpr_workitem_id 0
		.amdhsa_next_free_vgpr 9
		.amdhsa_next_free_sgpr 16
		.amdhsa_named_barrier_count 0
		.amdhsa_reserve_vcc 1
		.amdhsa_float_round_mode_32 0
		.amdhsa_float_round_mode_16_64 0
		.amdhsa_float_denorm_mode_32 3
		.amdhsa_float_denorm_mode_16_64 3
		.amdhsa_fp16_overflow 0
		.amdhsa_memory_ordered 1
		.amdhsa_forward_progress 1
		.amdhsa_inst_pref_size 4
		.amdhsa_round_robin_scheduling 0
		.amdhsa_exception_fp_ieee_invalid_op 0
		.amdhsa_exception_fp_denorm_src 0
		.amdhsa_exception_fp_ieee_div_zero 0
		.amdhsa_exception_fp_ieee_overflow 0
		.amdhsa_exception_fp_ieee_underflow 0
		.amdhsa_exception_fp_ieee_inexact 0
		.amdhsa_exception_int_div_zero 0
	.end_amdhsa_kernel
	.section	.text._ZN9rocsolver6v33100L11swap_kernelIfiEEvT0_PT_S2_S4_S2_,"axG",@progbits,_ZN9rocsolver6v33100L11swap_kernelIfiEEvT0_PT_S2_S4_S2_,comdat
.Lfunc_end2:
	.size	_ZN9rocsolver6v33100L11swap_kernelIfiEEvT0_PT_S2_S4_S2_, .Lfunc_end2-_ZN9rocsolver6v33100L11swap_kernelIfiEEvT0_PT_S2_S4_S2_
                                        ; -- End function
	.set _ZN9rocsolver6v33100L11swap_kernelIfiEEvT0_PT_S2_S4_S2_.num_vgpr, 9
	.set _ZN9rocsolver6v33100L11swap_kernelIfiEEvT0_PT_S2_S4_S2_.num_agpr, 0
	.set _ZN9rocsolver6v33100L11swap_kernelIfiEEvT0_PT_S2_S4_S2_.numbered_sgpr, 16
	.set _ZN9rocsolver6v33100L11swap_kernelIfiEEvT0_PT_S2_S4_S2_.num_named_barrier, 0
	.set _ZN9rocsolver6v33100L11swap_kernelIfiEEvT0_PT_S2_S4_S2_.private_seg_size, 0
	.set _ZN9rocsolver6v33100L11swap_kernelIfiEEvT0_PT_S2_S4_S2_.uses_vcc, 1
	.set _ZN9rocsolver6v33100L11swap_kernelIfiEEvT0_PT_S2_S4_S2_.uses_flat_scratch, 0
	.set _ZN9rocsolver6v33100L11swap_kernelIfiEEvT0_PT_S2_S4_S2_.has_dyn_sized_stack, 0
	.set _ZN9rocsolver6v33100L11swap_kernelIfiEEvT0_PT_S2_S4_S2_.has_recursion, 0
	.set _ZN9rocsolver6v33100L11swap_kernelIfiEEvT0_PT_S2_S4_S2_.has_indirect_call, 0
	.section	.AMDGPU.csdata,"",@progbits
; Kernel info:
; codeLenInByte = 500
; TotalNumSgprs: 18
; NumVgprs: 9
; ScratchSize: 0
; MemoryBound: 0
; FloatMode: 240
; IeeeMode: 1
; LDSByteSize: 0 bytes/workgroup (compile time only)
; SGPRBlocks: 0
; VGPRBlocks: 0
; NumSGPRsForWavesPerEU: 18
; NumVGPRsForWavesPerEU: 9
; NamedBarCnt: 0
; Occupancy: 16
; WaveLimiterHint : 0
; COMPUTE_PGM_RSRC2:SCRATCH_EN: 0
; COMPUTE_PGM_RSRC2:USER_SGPR: 2
; COMPUTE_PGM_RSRC2:TRAP_HANDLER: 0
; COMPUTE_PGM_RSRC2:TGID_X_EN: 1
; COMPUTE_PGM_RSRC2:TGID_Y_EN: 0
; COMPUTE_PGM_RSRC2:TGID_Z_EN: 0
; COMPUTE_PGM_RSRC2:TIDIG_COMP_CNT: 0
	.section	.text._ZN9rocsolver6v33100L10rot_kernelIffiEEvT1_PT0_S2_S4_S2_T_S5_,"axG",@progbits,_ZN9rocsolver6v33100L10rot_kernelIffiEEvT1_PT0_S2_S4_S2_T_S5_,comdat
	.globl	_ZN9rocsolver6v33100L10rot_kernelIffiEEvT1_PT0_S2_S4_S2_T_S5_ ; -- Begin function _ZN9rocsolver6v33100L10rot_kernelIffiEEvT1_PT0_S2_S4_S2_T_S5_
	.p2align	8
	.type	_ZN9rocsolver6v33100L10rot_kernelIffiEEvT1_PT0_S2_S4_S2_T_S5_,@function
_ZN9rocsolver6v33100L10rot_kernelIffiEEvT1_PT0_S2_S4_S2_T_S5_: ; @_ZN9rocsolver6v33100L10rot_kernelIffiEEvT1_PT0_S2_S4_S2_T_S5_
; %bb.0:
	s_load_b32 s11, s[0:1], 0x0
	s_wait_kmcnt 0x0
	s_cmp_lt_i32 s11, 1
	s_cbranch_scc1 .LBB3_10
; %bb.1:
	s_clause 0x2
	s_load_b32 s2, s[0:1], 0x3c
	s_load_b96 s[4:6], s[0:1], 0x8
	s_load_b96 s[8:10], s[0:1], 0x20
	s_bfe_u32 s3, ttmp6, 0x4000c
	s_and_b32 s12, ttmp6, 15
	s_add_co_i32 s3, s3, 1
	s_load_b32 s7, s[0:1], 0x30
	s_mul_i32 s3, ttmp9, s3
	s_getreg_b32 s13, hwreg(HW_REG_IB_STS2, 6, 4)
	s_add_co_i32 s12, s12, s3
	s_wait_kmcnt 0x0
	s_and_b32 s14, s2, 0xffff
	s_cmp_eq_u32 s13, 0
	s_load_b64 s[2:3], s[0:1], 0x18
	s_wait_xcnt 0x0
	s_cselect_b32 s0, ttmp9, s12
	s_cmp_eq_u32 s6, 1
	v_mad_u32 v0, s0, s14, v0
	s_cselect_b32 s0, -1, 0
	s_cmp_eq_u32 s8, 1
	s_mul_i32 s12, s7, s14
	s_cselect_b32 s1, -1, 0
	s_delay_alu instid0(SALU_CYCLE_1) | instskip(NEXT) | instid1(SALU_CYCLE_1)
	s_and_b32 s1, s0, s1
	s_and_b32 vcc_lo, exec_lo, s1
	s_mov_b32 s1, -1
	s_delay_alu instid0(VALU_DEP_1)
	v_cmp_gt_i32_e64 s0, s11, v0
	s_cbranch_vccnz .LBB3_6
; %bb.2:
	s_and_saveexec_b32 s1, s0
	s_cbranch_execz .LBB3_5
; %bb.3:
	v_ashrrev_i32_e32 v1, 31, v0
	s_ashr_i32 s7, s6, 31
	s_ashr_i32 s15, s8, 31
	s_mov_b32 s14, s8
	s_mov_b32 s16, s9
	v_mul_u64_e32 v[4:5], s[14:15], v[0:1]
	v_mul_u64_e32 v[6:7], s[6:7], v[0:1]
	s_mov_b32 s17, s10
	s_ashr_i32 s13, s12, 31
	v_mov_b64_e32 v[2:3], s[16:17]
	v_mov_b32_e32 v1, v0
	s_mul_u64 s[14:15], s[14:15], s[12:13]
	s_mul_u64 s[18:19], s[6:7], s[12:13]
	s_lshl_b64 s[6:7], s[14:15], 2
	s_lshl_b64 s[14:15], s[18:19], 2
	s_mov_b32 s8, 0
	s_wait_kmcnt 0x0
	s_delay_alu instid0(VALU_DEP_4) | instskip(NEXT) | instid1(VALU_DEP_4)
	v_lshl_add_u64 v[4:5], v[4:5], 2, s[2:3]
	v_lshl_add_u64 v[6:7], v[6:7], 2, s[4:5]
.LBB3_4:                                ; =>This Inner Loop Header: Depth=1
	global_load_b32 v9, v[4:5], off
	global_load_b32 v8, v[6:7], off
	s_wait_loadcnt 0x0
	v_dual_mov_b32 v10, v9 :: v_dual_mov_b32 v11, v8
	v_pk_mul_f32 v[8:9], v[2:3], v[8:9]
	s_delay_alu instid0(VALU_DEP_2) | instskip(SKIP_1) | instid1(VALU_DEP_2)
	v_pk_mul_f32 v[10:11], v[2:3], v[10:11]
	v_add_nc_u32_e32 v1, s12, v1
	v_dual_add_f32 v8, v8, v9 :: v_dual_sub_f32 v10, v10, v11
	s_delay_alu instid0(VALU_DEP_2)
	v_cmp_le_i32_e32 vcc_lo, s11, v1
	global_store_b32 v[4:5], v10, off
	global_store_b32 v[6:7], v8, off
	s_wait_xcnt 0x1
	v_add_nc_u64_e32 v[4:5], s[6:7], v[4:5]
	s_wait_xcnt 0x0
	v_add_nc_u64_e32 v[6:7], s[14:15], v[6:7]
	s_or_b32 s8, vcc_lo, s8
	s_delay_alu instid0(SALU_CYCLE_1)
	s_and_not1_b32 exec_lo, exec_lo, s8
	s_cbranch_execnz .LBB3_4
.LBB3_5:
	s_or_b32 exec_lo, exec_lo, s1
	s_mov_b32 s1, 0
.LBB3_6:
	s_delay_alu instid0(SALU_CYCLE_1)
	s_and_not1_b32 vcc_lo, exec_lo, s1
	s_cbranch_vccnz .LBB3_10
; %bb.7:
	s_and_saveexec_b32 s1, s0
	s_cbranch_execz .LBB3_10
; %bb.8:
	v_ashrrev_i32_e32 v1, 31, v0
	s_mov_b32 s0, s9
	s_mov_b32 s1, s10
	s_ashr_i32 s13, s12, 31
	v_mov_b64_e32 v[4:5], s[0:1]
	v_lshlrev_b64_e32 v[2:3], 2, v[0:1]
	s_lshl_b64 s[0:1], s[12:13], 2
	s_mov_b32 s6, 0
.LBB3_9:                                ; =>This Inner Loop Header: Depth=1
	s_wait_kmcnt 0x0
	s_delay_alu instid0(VALU_DEP_1)
	v_add_nc_u64_e32 v[6:7], s[2:3], v[2:3]
	v_add_nc_u64_e32 v[8:9], s[4:5], v[2:3]
	;; [unrolled: 1-line block ×3, first 2 shown]
	global_load_b32 v11, v[6:7], off
	global_load_b32 v10, v[8:9], off
	s_wait_loadcnt 0x0
	v_dual_mov_b32 v12, v11 :: v_dual_mov_b32 v13, v10
	v_pk_mul_f32 v[10:11], v[4:5], v[10:11]
	v_add_nc_u32_e32 v0, s12, v0
	s_delay_alu instid0(VALU_DEP_3) | instskip(NEXT) | instid1(VALU_DEP_3)
	v_pk_mul_f32 v[12:13], v[4:5], v[12:13]
	v_add_f32_e32 v1, v10, v11
	s_delay_alu instid0(VALU_DEP_3) | instskip(NEXT) | instid1(VALU_DEP_3)
	v_cmp_le_i32_e32 vcc_lo, s11, v0
	v_sub_f32_e32 v10, v12, v13
	global_store_b32 v[6:7], v10, off
	global_store_b32 v[8:9], v1, off
	s_or_b32 s6, vcc_lo, s6
	s_wait_xcnt 0x0
	s_and_not1_b32 exec_lo, exec_lo, s6
	s_cbranch_execnz .LBB3_9
.LBB3_10:
	s_endpgm
	.section	.rodata,"a",@progbits
	.p2align	6, 0x0
	.amdhsa_kernel _ZN9rocsolver6v33100L10rot_kernelIffiEEvT1_PT0_S2_S4_S2_T_S5_
		.amdhsa_group_segment_fixed_size 0
		.amdhsa_private_segment_fixed_size 0
		.amdhsa_kernarg_size 304
		.amdhsa_user_sgpr_count 2
		.amdhsa_user_sgpr_dispatch_ptr 0
		.amdhsa_user_sgpr_queue_ptr 0
		.amdhsa_user_sgpr_kernarg_segment_ptr 1
		.amdhsa_user_sgpr_dispatch_id 0
		.amdhsa_user_sgpr_kernarg_preload_length 0
		.amdhsa_user_sgpr_kernarg_preload_offset 0
		.amdhsa_user_sgpr_private_segment_size 0
		.amdhsa_wavefront_size32 1
		.amdhsa_uses_dynamic_stack 0
		.amdhsa_enable_private_segment 0
		.amdhsa_system_sgpr_workgroup_id_x 1
		.amdhsa_system_sgpr_workgroup_id_y 0
		.amdhsa_system_sgpr_workgroup_id_z 0
		.amdhsa_system_sgpr_workgroup_info 0
		.amdhsa_system_vgpr_workitem_id 0
		.amdhsa_next_free_vgpr 14
		.amdhsa_next_free_sgpr 20
		.amdhsa_named_barrier_count 0
		.amdhsa_reserve_vcc 1
		.amdhsa_float_round_mode_32 0
		.amdhsa_float_round_mode_16_64 0
		.amdhsa_float_denorm_mode_32 3
		.amdhsa_float_denorm_mode_16_64 3
		.amdhsa_fp16_overflow 0
		.amdhsa_memory_ordered 1
		.amdhsa_forward_progress 1
		.amdhsa_inst_pref_size 5
		.amdhsa_round_robin_scheduling 0
		.amdhsa_exception_fp_ieee_invalid_op 0
		.amdhsa_exception_fp_denorm_src 0
		.amdhsa_exception_fp_ieee_div_zero 0
		.amdhsa_exception_fp_ieee_overflow 0
		.amdhsa_exception_fp_ieee_underflow 0
		.amdhsa_exception_fp_ieee_inexact 0
		.amdhsa_exception_int_div_zero 0
	.end_amdhsa_kernel
	.section	.text._ZN9rocsolver6v33100L10rot_kernelIffiEEvT1_PT0_S2_S4_S2_T_S5_,"axG",@progbits,_ZN9rocsolver6v33100L10rot_kernelIffiEEvT1_PT0_S2_S4_S2_T_S5_,comdat
.Lfunc_end3:
	.size	_ZN9rocsolver6v33100L10rot_kernelIffiEEvT1_PT0_S2_S4_S2_T_S5_, .Lfunc_end3-_ZN9rocsolver6v33100L10rot_kernelIffiEEvT1_PT0_S2_S4_S2_T_S5_
                                        ; -- End function
	.set _ZN9rocsolver6v33100L10rot_kernelIffiEEvT1_PT0_S2_S4_S2_T_S5_.num_vgpr, 14
	.set _ZN9rocsolver6v33100L10rot_kernelIffiEEvT1_PT0_S2_S4_S2_T_S5_.num_agpr, 0
	.set _ZN9rocsolver6v33100L10rot_kernelIffiEEvT1_PT0_S2_S4_S2_T_S5_.numbered_sgpr, 20
	.set _ZN9rocsolver6v33100L10rot_kernelIffiEEvT1_PT0_S2_S4_S2_T_S5_.num_named_barrier, 0
	.set _ZN9rocsolver6v33100L10rot_kernelIffiEEvT1_PT0_S2_S4_S2_T_S5_.private_seg_size, 0
	.set _ZN9rocsolver6v33100L10rot_kernelIffiEEvT1_PT0_S2_S4_S2_T_S5_.uses_vcc, 1
	.set _ZN9rocsolver6v33100L10rot_kernelIffiEEvT1_PT0_S2_S4_S2_T_S5_.uses_flat_scratch, 0
	.set _ZN9rocsolver6v33100L10rot_kernelIffiEEvT1_PT0_S2_S4_S2_T_S5_.has_dyn_sized_stack, 0
	.set _ZN9rocsolver6v33100L10rot_kernelIffiEEvT1_PT0_S2_S4_S2_T_S5_.has_recursion, 0
	.set _ZN9rocsolver6v33100L10rot_kernelIffiEEvT1_PT0_S2_S4_S2_T_S5_.has_indirect_call, 0
	.section	.AMDGPU.csdata,"",@progbits
; Kernel info:
; codeLenInByte = 608
; TotalNumSgprs: 22
; NumVgprs: 14
; ScratchSize: 0
; MemoryBound: 0
; FloatMode: 240
; IeeeMode: 1
; LDSByteSize: 0 bytes/workgroup (compile time only)
; SGPRBlocks: 0
; VGPRBlocks: 0
; NumSGPRsForWavesPerEU: 22
; NumVGPRsForWavesPerEU: 14
; NamedBarCnt: 0
; Occupancy: 16
; WaveLimiterHint : 0
; COMPUTE_PGM_RSRC2:SCRATCH_EN: 0
; COMPUTE_PGM_RSRC2:USER_SGPR: 2
; COMPUTE_PGM_RSRC2:TRAP_HANDLER: 0
; COMPUTE_PGM_RSRC2:TGID_X_EN: 1
; COMPUTE_PGM_RSRC2:TGID_Y_EN: 0
; COMPUTE_PGM_RSRC2:TGID_Z_EN: 0
; COMPUTE_PGM_RSRC2:TIDIG_COMP_CNT: 0
	.section	.text._ZN9rocsolver6v33100L11lasr_kernelIffPfiEEv13rocblas_side_14rocblas_pivot_15rocblas_direct_T2_S6_PT0_lS8_lT1_lS6_lS6_,"axG",@progbits,_ZN9rocsolver6v33100L11lasr_kernelIffPfiEEv13rocblas_side_14rocblas_pivot_15rocblas_direct_T2_S6_PT0_lS8_lT1_lS6_lS6_,comdat
	.globl	_ZN9rocsolver6v33100L11lasr_kernelIffPfiEEv13rocblas_side_14rocblas_pivot_15rocblas_direct_T2_S6_PT0_lS8_lT1_lS6_lS6_ ; -- Begin function _ZN9rocsolver6v33100L11lasr_kernelIffPfiEEv13rocblas_side_14rocblas_pivot_15rocblas_direct_T2_S6_PT0_lS8_lT1_lS6_lS6_
	.p2align	8
	.type	_ZN9rocsolver6v33100L11lasr_kernelIffPfiEEv13rocblas_side_14rocblas_pivot_15rocblas_direct_T2_S6_PT0_lS8_lT1_lS6_lS6_,@function
_ZN9rocsolver6v33100L11lasr_kernelIffPfiEEv13rocblas_side_14rocblas_pivot_15rocblas_direct_T2_S6_PT0_lS8_lT1_lS6_lS6_: ; @_ZN9rocsolver6v33100L11lasr_kernelIffPfiEEv13rocblas_side_14rocblas_pivot_15rocblas_direct_T2_S6_PT0_lS8_lT1_lS6_lS6_
; %bb.0:
	s_load_b32 s33, s[0:1], 0x58
	s_bfe_u32 s2, ttmp6, 0x40014
	s_lshr_b32 s3, ttmp7, 16
	s_add_co_i32 s2, s2, 1
	s_bfe_u32 s5, ttmp6, 0x40008
	s_mul_i32 s2, s3, s2
	s_getreg_b32 s4, hwreg(HW_REG_IB_STS2, 6, 4)
	s_add_co_i32 s5, s5, s2
	s_cmp_eq_u32 s4, 0
	s_cselect_b32 s2, s3, s5
	s_mov_b32 s3, 0
	s_wait_kmcnt 0x0
	s_cmp_ge_u32 s2, s33
	s_cbranch_scc1 .LBB4_108
; %bb.1:
	s_clause 0x3
	s_load_b32 s20, s[0:1], 0x48
	s_load_b64 s[22:23], s[0:1], 0x68
	s_load_b128 s[16:19], s[0:1], 0x38
	s_load_b128 s[12:15], s[0:1], 0x0
	s_bfe_u32 s5, ttmp6, 0x4000c
	s_and_b32 s6, ttmp6, 15
	s_add_co_i32 s5, s5, 1
	s_load_b32 s24, s[0:1], 0x60
	s_mul_i32 s5, ttmp9, s5
	s_mov_b32 s37, s3
	s_add_co_i32 s6, s6, s5
	s_mov_b32 s49, s3
	s_wait_kmcnt 0x0
	s_ashr_i32 s21, s20, 31
	s_and_b32 s25, s23, 0xffff
	s_cmp_eq_u32 s4, 0
	s_load_b32 s23, s[0:1], 0x10
	s_cselect_b32 s26, ttmp9, s6
	s_lshl_b64 s[46:47], s[18:19], 2
	v_mad_u32 v0, s26, s25, v0
	s_cmp_eq_u32 s12, 0x8d
	s_load_b64 s[18:19], s[0:1], 0x50
	s_cselect_b32 s27, -1, 0
	s_cmp_eq_u32 s12, 0x8e
	s_load_b256 s[4:11], s[0:1], 0x18
	s_cselect_b32 s28, -1, 0
	s_cmp_eq_u32 s13, 0x119
	s_mul_i32 s12, s24, s25
	s_cselect_b32 s29, -1, 0
	s_cmp_eq_u32 s13, 0x11b
	v_ashrrev_i32_e32 v1, 31, v0
	s_wait_xcnt 0x0
	s_cselect_b32 s0, -1, 0
	s_cmp_eq_u32 s13, 0x11a
	s_add_nc_u64 s[24:25], s[16:17], s[46:47]
	s_cselect_b32 s1, -1, 0
	v_mul_u64_e32 v[8:9], s[20:21], v[0:1]
	s_cmp_eq_u32 s14, 0xab
	v_lshlrev_b64_e32 v[10:11], 2, v[0:1]
	s_cselect_b32 s13, -1, 0
	s_cmp_eq_u32 s14, 0xac
	v_mov_b32_e32 v1, 0
	s_cselect_b32 s30, -1, 0
	s_and_b32 s26, s27, s1
	s_and_b32 s14, s27, s29
	;; [unrolled: 1-line block ×6, first 2 shown]
	s_xor_b32 s78, s26, -1
	s_and_b32 s26, s28, s29
	s_and_b32 s1, s28, s1
	;; [unrolled: 1-line block ×3, first 2 shown]
	v_cmp_gt_i32_e64 s0, s15, v0
	s_and_b32 s34, s14, s30
	s_xor_b32 s14, s31, -1
	s_and_b32 s31, s27, s13
	s_and_b32 s27, s27, s30
	s_and_b32 s29, s26, s13
	s_xor_b32 s80, s27, -1
	s_and_b32 s26, s26, s30
	s_and_b32 s27, s1, s13
	;; [unrolled: 1-line block ×3, first 2 shown]
	s_xor_b32 s82, s26, -1
	s_and_b32 s13, s28, s13
	s_xor_b32 s84, s1, -1
	s_wait_kmcnt 0x0
	s_add_co_i32 s26, s23, -1
	s_and_b32 s1, s30, s0
	s_xor_b32 s76, s34, -1
	s_xor_b32 s77, s35, -1
	;; [unrolled: 1-line block ×6, first 2 shown]
	s_ashr_i32 s27, s26, 31
	s_and_b32 s86, s28, s1
	s_add_co_i32 s36, s23, -2
	s_cmp_gt_i32 s23, 1
	s_mul_u64 s[28:29], s[20:21], s[26:27]
	s_mov_b32 s27, s3
	s_cselect_b32 s87, -1, 0
	s_ashr_i32 s31, s15, 31
	s_add_co_i32 s48, s15, -2
	s_cmp_gt_i32 s15, 1
	s_mul_u64 s[50:51], s[20:21], s[26:27]
	s_cselect_b32 s88, -1, 0
	s_lshl_b64 s[50:51], s[50:51], 2
	s_lshl_b64 s[42:43], s[20:21], 2
	s_add_nc_u64 s[50:51], s[50:51], s[46:47]
	s_lshl_b64 s[38:39], s[36:37], 2
	s_mul_u64 s[36:37], s[20:21], s[36:37]
	s_add_nc_u64 s[50:51], s[16:17], s[50:51]
	s_add_nc_u64 s[52:53], s[46:47], s[42:43]
	s_lshl_b64 s[36:37], s[36:37], 2
	v_add_nc_u64_e32 v[6:7], s[50:51], v[10:11]
	s_add_nc_u64 s[50:51], s[16:17], s[52:53]
	v_lshl_add_u64 v[14:15], v[8:9], 2, s[46:47]
	s_add_nc_u64 s[40:41], s[36:37], s[46:47]
	v_add_nc_u64_e32 v[8:9], s[50:51], v[10:11]
	s_lshl_b64 s[50:51], s[48:49], 2
	s_add_nc_u64 s[34:35], s[4:5], s[38:39]
	s_add_nc_u64 s[36:37], s[8:9], s[38:39]
	;; [unrolled: 1-line block ×4, first 2 shown]
	v_add_nc_u64_e32 v[2:3], s[38:39], v[10:11]
	v_add_nc_u64_e32 v[4:5], s[24:25], v[10:11]
	;; [unrolled: 1-line block ×4, first 2 shown]
	s_add_co_i32 s46, s15, -1
	s_mov_b32 s47, s3
	s_ashr_i32 s13, s12, 31
	s_lshl_b64 s[52:53], s[46:47], 2
	v_cmp_gt_i32_e64 s1, s23, v0
	s_add_nc_u64 s[16:17], s[16:17], s[52:53]
	v_add_nc_u64_e32 v[16:17], 4, v[10:11]
	v_add_nc_u64_e32 v[14:15], s[16:17], v[14:15]
	;; [unrolled: 1-line block ×3, first 2 shown]
	s_mul_u64 s[52:53], s[20:21], s[12:13]
	s_mov_b32 s30, s15
	s_lshl_b64 s[6:7], s[6:7], 2
	s_lshl_b64 s[10:11], s[10:11], 2
	s_lshl_b64 s[38:39], s[18:19], 2
	s_lshl_b64 s[40:41], s[12:13], 2
	s_sub_nc_u64 s[44:45], 0, s[42:43]
	s_add_co_i32 s27, s23, 1
	s_add_nc_u64 s[48:49], s[4:5], s[50:51]
	s_add_nc_u64 s[16:17], s[8:9], s[50:51]
	s_lshl_b64 s[50:51], s[52:53], 2
	s_add_co_i32 s13, s15, 1
	s_branch .LBB4_4
.LBB4_2:                                ;   in Loop: Header=BB4_4 Depth=1
	s_or_b32 exec_lo, exec_lo, s47
.LBB4_3:                                ;   in Loop: Header=BB4_4 Depth=1
	s_add_co_i32 s2, s2, s22
	s_delay_alu instid0(SALU_CYCLE_1)
	s_cmp_ge_u32 s2, s33
	s_cbranch_scc1 .LBB4_108
.LBB4_4:                                ; =>This Loop Header: Depth=1
                                        ;     Child Loop BB4_19 Depth 2
                                        ;       Child Loop BB4_20 Depth 3
                                        ;     Child Loop BB4_26 Depth 2
                                        ;       Child Loop BB4_27 Depth 3
	;; [unrolled: 2-line block ×12, first 2 shown]
	s_mul_u64 s[62:63], s[38:39], s[2:3]
	s_mul_u64 s[54:55], s[18:19], s[2:3]
	v_add_nc_u64_e32 v[20:21], s[62:63], v[16:17]
	s_mul_u64 s[64:65], s[6:7], s[2:3]
	s_mul_u64 s[66:67], s[10:11], s[2:3]
	s_lshl_b64 s[56:57], s[54:55], 2
	s_add_nc_u64 s[52:53], s[4:5], s[64:65]
	s_add_nc_u64 s[54:55], s[8:9], s[66:67]
	;; [unrolled: 1-line block ×3, first 2 shown]
	s_and_b32 vcc_lo, exec_lo, s14
	s_mov_b32 s47, -1
	s_cbranch_vccnz .LBB4_6
; %bb.5:                                ;   in Loop: Header=BB4_4 Depth=1
	s_and_not1_b32 vcc_lo, exec_lo, s47
	s_cbranch_vccnz .LBB4_3
	s_branch .LBB4_103
.LBB4_6:                                ;   in Loop: Header=BB4_4 Depth=1
	s_add_nc_u64 s[58:59], s[48:49], s[64:65]
	s_add_nc_u64 s[60:61], s[16:17], s[66:67]
	s_and_b32 vcc_lo, exec_lo, s76
	s_cbranch_vccz .LBB4_95
; %bb.7:                                ;   in Loop: Header=BB4_4 Depth=1
	s_and_b32 vcc_lo, exec_lo, s77
	s_cbranch_vccz .LBB4_87
; %bb.8:                                ;   in Loop: Header=BB4_4 Depth=1
	;; [unrolled: 3-line block ×3, first 2 shown]
	s_and_b32 vcc_lo, exec_lo, s79
	s_cbranch_vccz .LBB4_71
; %bb.10:                               ;   in Loop: Header=BB4_4 Depth=1
	s_and_b32 vcc_lo, exec_lo, s80
	s_cbranch_vccz .LBB4_63
; %bb.11:                               ;   in Loop: Header=BB4_4 Depth=1
	v_add_nc_u64_e32 v[22:23], s[62:63], v[4:5]
	s_and_b32 vcc_lo, exec_lo, s81
	s_cbranch_vccz .LBB4_55
; %bb.12:                               ;   in Loop: Header=BB4_4 Depth=1
	v_add_nc_u64_e32 v[24:25], s[62:63], v[6:7]
	v_add_nc_u64_e32 v[26:27], s[62:63], v[2:3]
	s_add_nc_u64 s[64:65], s[34:35], s[64:65]
	s_add_nc_u64 s[66:67], s[36:37], s[66:67]
	s_and_b32 vcc_lo, exec_lo, s82
	s_cbranch_vccz .LBB4_46
; %bb.13:                               ;   in Loop: Header=BB4_4 Depth=1
	s_and_b32 vcc_lo, exec_lo, s83
	s_cbranch_vccz .LBB4_38
; %bb.14:                               ;   in Loop: Header=BB4_4 Depth=1
	;; [unrolled: 3-line block ×4, first 2 shown]
	s_and_saveexec_b32 s47, s86
	s_cbranch_execz .LBB4_21
; %bb.17:                               ;   in Loop: Header=BB4_4 Depth=1
	v_mov_b64_e32 v[28:29], v[26:27]
	v_mov_b32_e32 v30, v0
	s_lshl_b64 s[68:69], s[28:29], 2
	s_mov_b32 s74, 0
	s_add_nc_u64 s[68:69], s[56:57], s[68:69]
	s_branch .LBB4_19
.LBB4_18:                               ;   in Loop: Header=BB4_19 Depth=2
	v_ashrrev_i32_e32 v31, 31, v30
	v_add_nc_u64_e32 v[28:29], s[40:41], v[28:29]
	s_delay_alu instid0(VALU_DEP_2)
	v_lshl_add_u64 v[34:35], v[30:31], 2, s[68:69]
	s_wait_xcnt 0x0
	v_add_nc_u32_e32 v30, s12, v30
	s_wait_loadcnt 0x0
	global_store_b32 v[34:35], v32, off
	v_cmp_le_i32_e32 vcc_lo, s15, v30
	s_or_b32 s74, vcc_lo, s74
	s_wait_xcnt 0x0
	s_and_not1_b32 exec_lo, exec_lo, s74
	s_cbranch_execz .LBB4_21
.LBB4_19:                               ;   Parent Loop BB4_4 Depth=1
                                        ; =>  This Loop Header: Depth=2
                                        ;       Child Loop BB4_20 Depth 3
	global_load_b32 v32, v30, s[68:69] scale_offset
	v_mov_b64_e32 v[34:35], v[28:29]
	s_and_not1_b32 vcc_lo, exec_lo, s87
	s_mov_b64 s[70:71], s[66:67]
	s_mov_b64 s[72:73], s[64:65]
	s_mov_b32 s75, s26
	s_cbranch_vccnz .LBB4_18
.LBB4_20:                               ;   Parent Loop BB4_4 Depth=1
                                        ;     Parent Loop BB4_19 Depth=2
                                        ; =>    This Inner Loop Header: Depth=3
	s_clause 0x1
	global_load_b32 v33, v1, s[72:73]
	global_load_b32 v36, v1, s[70:71]
	global_load_b32 v37, v[34:35], off
	s_wait_loadcnt 0x3
	v_mov_b32_e32 v38, v32
	s_add_co_i32 s75, s75, -1
	s_wait_xcnt 0x2
	s_add_nc_u64 s[72:73], s[72:73], -4
	s_cmp_eq_u32 s75, 0
	s_wait_xcnt 0x1
	s_add_nc_u64 s[70:71], s[70:71], -4
	s_wait_loadcnt 0x1
	v_mov_b32_e32 v39, v36
	s_wait_loadcnt 0x0
	v_pk_mul_f32 v[40:41], v[32:33], v[36:37]
	s_delay_alu instid0(VALU_DEP_1) | instskip(NEXT) | instid1(VALU_DEP_1)
	v_dual_mov_b32 v36, v33 :: v_dual_add_f32 v31, v40, v41
	v_pk_mul_f32 v[32:33], v[38:39], v[36:37]
	global_store_b32 v[34:35], v31, off
	s_wait_xcnt 0x0
	v_add_nc_u64_e32 v[34:35], s[44:45], v[34:35]
	v_sub_f32_e32 v32, v32, v33
	s_cbranch_scc0 .LBB4_20
	s_branch .LBB4_18
.LBB4_21:                               ;   in Loop: Header=BB4_4 Depth=1
	s_or_b32 exec_lo, exec_lo, s47
	s_mov_b32 s47, 0
.LBB4_22:                               ;   in Loop: Header=BB4_4 Depth=1
	s_delay_alu instid0(SALU_CYCLE_1)
	s_and_not1_b32 vcc_lo, exec_lo, s47
	s_cbranch_vccnz .LBB4_29
; %bb.23:                               ;   in Loop: Header=BB4_4 Depth=1
	s_and_saveexec_b32 s47, s0
	s_cbranch_execz .LBB4_28
; %bb.24:                               ;   in Loop: Header=BB4_4 Depth=1
	v_mov_b64_e32 v[28:29], v[22:23]
	v_mov_b32_e32 v30, v0
	s_lshl_b64 s[68:69], s[28:29], 2
	s_mov_b32 s74, 0
	s_add_nc_u64 s[68:69], s[56:57], s[68:69]
	s_branch .LBB4_26
.LBB4_25:                               ;   in Loop: Header=BB4_26 Depth=2
	v_ashrrev_i32_e32 v31, 31, v30
	v_add_nc_u64_e32 v[28:29], s[40:41], v[28:29]
	s_delay_alu instid0(VALU_DEP_2)
	v_lshl_add_u64 v[34:35], v[30:31], 2, s[68:69]
	s_wait_xcnt 0x0
	v_add_nc_u32_e32 v30, s12, v30
	s_wait_loadcnt 0x0
	global_store_b32 v[34:35], v32, off
	v_cmp_le_i32_e32 vcc_lo, s15, v30
	s_or_b32 s74, vcc_lo, s74
	s_wait_xcnt 0x0
	s_and_not1_b32 exec_lo, exec_lo, s74
	s_cbranch_execz .LBB4_28
.LBB4_26:                               ;   Parent Loop BB4_4 Depth=1
                                        ; =>  This Loop Header: Depth=2
                                        ;       Child Loop BB4_27 Depth 3
	global_load_b32 v32, v30, s[68:69] scale_offset
	v_mov_b64_e32 v[34:35], v[28:29]
	s_and_not1_b32 vcc_lo, exec_lo, s87
	s_mov_b64 s[70:71], s[54:55]
	s_mov_b64 s[72:73], s[52:53]
	s_mov_b32 s75, s26
	s_cbranch_vccnz .LBB4_25
.LBB4_27:                               ;   Parent Loop BB4_4 Depth=1
                                        ;     Parent Loop BB4_26 Depth=2
                                        ; =>    This Inner Loop Header: Depth=3
	s_clause 0x1
	global_load_b32 v33, v1, s[72:73]
	global_load_b32 v36, v1, s[70:71]
	global_load_b32 v37, v[34:35], off
	s_wait_loadcnt 0x3
	v_mov_b32_e32 v38, v32
	s_add_co_i32 s75, s75, -1
	s_wait_xcnt 0x2
	s_add_nc_u64 s[72:73], s[72:73], 4
	s_cmp_eq_u32 s75, 0
	s_wait_xcnt 0x1
	s_add_nc_u64 s[70:71], s[70:71], 4
	s_wait_loadcnt 0x1
	v_mov_b32_e32 v39, v36
	s_wait_loadcnt 0x0
	v_pk_mul_f32 v[40:41], v[32:33], v[36:37]
	s_delay_alu instid0(VALU_DEP_1) | instskip(NEXT) | instid1(VALU_DEP_1)
	v_dual_mov_b32 v36, v33 :: v_dual_add_f32 v31, v40, v41
	v_pk_mul_f32 v[32:33], v[38:39], v[36:37]
	global_store_b32 v[34:35], v31, off
	s_wait_xcnt 0x0
	v_add_nc_u64_e32 v[34:35], s[42:43], v[34:35]
	v_sub_f32_e32 v32, v32, v33
	s_cbranch_scc0 .LBB4_27
	s_branch .LBB4_25
.LBB4_28:                               ;   in Loop: Header=BB4_4 Depth=1
	s_or_b32 exec_lo, exec_lo, s47
.LBB4_29:                               ;   in Loop: Header=BB4_4 Depth=1
	s_mov_b32 s47, 0
.LBB4_30:                               ;   in Loop: Header=BB4_4 Depth=1
	s_delay_alu instid0(SALU_CYCLE_1)
	s_and_not1_b32 vcc_lo, exec_lo, s47
	s_cbranch_vccnz .LBB4_37
; %bb.31:                               ;   in Loop: Header=BB4_4 Depth=1
	s_and_saveexec_b32 s47, s0
	s_cbranch_execz .LBB4_36
; %bb.32:                               ;   in Loop: Header=BB4_4 Depth=1
	v_mov_b64_e32 v[28:29], v[24:25]
	v_mov_b32_e32 v30, v0
	s_mov_b32 s72, 0
	s_branch .LBB4_34
.LBB4_33:                               ;   in Loop: Header=BB4_34 Depth=2
	v_ashrrev_i32_e32 v31, 31, v30
	v_add_nc_u64_e32 v[28:29], s[40:41], v[28:29]
	s_delay_alu instid0(VALU_DEP_2)
	v_lshl_add_u64 v[34:35], v[30:31], 2, s[56:57]
	s_wait_xcnt 0x0
	v_add_nc_u32_e32 v30, s12, v30
	s_wait_loadcnt 0x0
	global_store_b32 v[34:35], v33, off
	v_cmp_le_i32_e32 vcc_lo, s15, v30
	s_or_b32 s72, vcc_lo, s72
	s_wait_xcnt 0x0
	s_and_not1_b32 exec_lo, exec_lo, s72
	s_cbranch_execz .LBB4_36
.LBB4_34:                               ;   Parent Loop BB4_4 Depth=1
                                        ; =>  This Loop Header: Depth=2
                                        ;       Child Loop BB4_35 Depth 3
	global_load_b32 v33, v30, s[56:57] scale_offset
	v_mov_b64_e32 v[34:35], v[28:29]
	s_and_not1_b32 vcc_lo, exec_lo, s87
	s_mov_b64 s[68:69], s[66:67]
	s_mov_b64 s[70:71], s[64:65]
	s_mov_b32 s73, s27
	s_cbranch_vccnz .LBB4_33
.LBB4_35:                               ;   Parent Loop BB4_4 Depth=1
                                        ;     Parent Loop BB4_34 Depth=2
                                        ; =>    This Inner Loop Header: Depth=3
	s_clause 0x1
	global_load_b32 v32, v1, s[70:71]
	global_load_b32 v37, v1, s[68:69]
	global_load_b32 v36, v[34:35], off
	s_wait_loadcnt 0x3
	v_mov_b32_e32 v38, v33
	s_add_co_i32 s73, s73, -1
	s_wait_xcnt 0x2
	s_add_nc_u64 s[70:71], s[70:71], -4
	s_cmp_lt_u32 s73, 3
	s_wait_xcnt 0x1
	s_add_nc_u64 s[68:69], s[68:69], -4
	s_wait_loadcnt 0x1
	v_mov_b32_e32 v39, v37
	s_wait_loadcnt 0x0
	v_pk_mul_f32 v[40:41], v[32:33], v[36:37]
	v_mov_b32_e32 v33, v36
	s_delay_alu instid0(VALU_DEP_2) | instskip(NEXT) | instid1(VALU_DEP_2)
	v_sub_f32_e32 v31, v40, v41
	v_pk_mul_f32 v[32:33], v[38:39], v[32:33]
	global_store_b32 v[34:35], v31, off
	s_wait_xcnt 0x0
	v_add_nc_u64_e32 v[34:35], s[44:45], v[34:35]
	v_add_f32_e32 v33, v32, v33
	s_cbranch_scc0 .LBB4_35
	s_branch .LBB4_33
.LBB4_36:                               ;   in Loop: Header=BB4_4 Depth=1
	s_or_b32 exec_lo, exec_lo, s47
.LBB4_37:                               ;   in Loop: Header=BB4_4 Depth=1
	s_mov_b32 s47, 0
.LBB4_38:                               ;   in Loop: Header=BB4_4 Depth=1
	s_delay_alu instid0(SALU_CYCLE_1)
	s_and_not1_b32 vcc_lo, exec_lo, s47
	s_cbranch_vccnz .LBB4_45
; %bb.39:                               ;   in Loop: Header=BB4_4 Depth=1
	s_and_saveexec_b32 s47, s0
	s_cbranch_execz .LBB4_44
; %bb.40:                               ;   in Loop: Header=BB4_4 Depth=1
	v_add_nc_u64_e32 v[28:29], s[62:63], v[8:9]
	v_mov_b32_e32 v30, v0
	s_mov_b32 s72, 0
	s_branch .LBB4_42
.LBB4_41:                               ;   in Loop: Header=BB4_42 Depth=2
	v_ashrrev_i32_e32 v31, 31, v30
	v_add_nc_u64_e32 v[28:29], s[40:41], v[28:29]
	s_delay_alu instid0(VALU_DEP_2)
	v_lshl_add_u64 v[34:35], v[30:31], 2, s[56:57]
	s_wait_xcnt 0x0
	v_add_nc_u32_e32 v30, s12, v30
	s_wait_loadcnt 0x0
	global_store_b32 v[34:35], v33, off
	v_cmp_le_i32_e32 vcc_lo, s15, v30
	s_or_b32 s72, vcc_lo, s72
	s_wait_xcnt 0x0
	s_and_not1_b32 exec_lo, exec_lo, s72
	s_cbranch_execz .LBB4_44
.LBB4_42:                               ;   Parent Loop BB4_4 Depth=1
                                        ; =>  This Loop Header: Depth=2
                                        ;       Child Loop BB4_43 Depth 3
	global_load_b32 v33, v30, s[56:57] scale_offset
	v_mov_b64_e32 v[34:35], v[28:29]
	s_and_not1_b32 vcc_lo, exec_lo, s87
	s_mov_b32 s73, s26
	s_mov_b64 s[68:69], s[52:53]
	s_mov_b64 s[70:71], s[54:55]
	s_cbranch_vccnz .LBB4_41
.LBB4_43:                               ;   Parent Loop BB4_4 Depth=1
                                        ;     Parent Loop BB4_42 Depth=2
                                        ; =>    This Inner Loop Header: Depth=3
	s_clause 0x1
	global_load_b32 v32, v1, s[68:69]
	global_load_b32 v37, v1, s[70:71]
	global_load_b32 v36, v[34:35], off
	s_wait_loadcnt 0x3
	v_mov_b32_e32 v38, v33
	s_add_co_i32 s73, s73, -1
	s_wait_xcnt 0x1
	s_add_nc_u64 s[70:71], s[70:71], 4
	s_cmp_eq_u32 s73, 0
	s_add_nc_u64 s[68:69], s[68:69], 4
	s_wait_loadcnt 0x1
	v_mov_b32_e32 v39, v37
	s_wait_loadcnt 0x0
	v_pk_mul_f32 v[40:41], v[32:33], v[36:37]
	v_mov_b32_e32 v33, v36
	s_delay_alu instid0(VALU_DEP_2) | instskip(NEXT) | instid1(VALU_DEP_2)
	v_sub_f32_e32 v31, v40, v41
	v_pk_mul_f32 v[32:33], v[38:39], v[32:33]
	global_store_b32 v[34:35], v31, off
	s_wait_xcnt 0x0
	v_add_nc_u64_e32 v[34:35], s[42:43], v[34:35]
	v_add_f32_e32 v33, v32, v33
	s_cbranch_scc0 .LBB4_43
	s_branch .LBB4_41
.LBB4_44:                               ;   in Loop: Header=BB4_4 Depth=1
	s_or_b32 exec_lo, exec_lo, s47
.LBB4_45:                               ;   in Loop: Header=BB4_4 Depth=1
	s_mov_b32 s47, 0
.LBB4_46:                               ;   in Loop: Header=BB4_4 Depth=1
	s_delay_alu instid0(SALU_CYCLE_1)
	s_and_not1_b32 vcc_lo, exec_lo, s47
	s_cbranch_vccnz .LBB4_54
; %bb.47:                               ;   in Loop: Header=BB4_4 Depth=1
	s_and_saveexec_b32 s47, s0
	s_cbranch_execz .LBB4_53
; %bb.48:                               ;   in Loop: Header=BB4_4 Depth=1
	v_mov_b32_e32 v28, v0
	s_lshl_b64 s[68:69], s[28:29], 2
	s_mov_b32 s89, 0
	s_add_nc_u64 s[68:69], s[56:57], s[68:69]
	s_branch .LBB4_50
.LBB4_49:                               ;   in Loop: Header=BB4_50 Depth=2
	s_wait_xcnt 0x0
	v_ashrrev_i32_e32 v29, 31, v28
	v_add_nc_u64_e32 v[24:25], s[40:41], v[24:25]
	v_add_nc_u64_e32 v[26:27], s[40:41], v[26:27]
	s_delay_alu instid0(VALU_DEP_3)
	v_lshl_add_u64 v[32:33], v[28:29], 2, s[56:57]
	v_add_nc_u32_e32 v28, s12, v28
	s_wait_loadcnt 0x0
	global_store_b32 v[32:33], v30, off
	v_cmp_le_i32_e32 vcc_lo, s15, v28
	s_or_b32 s89, vcc_lo, s89
	s_wait_xcnt 0x0
	s_and_not1_b32 exec_lo, exec_lo, s89
	s_cbranch_execz .LBB4_53
.LBB4_50:                               ;   Parent Loop BB4_4 Depth=1
                                        ; =>  This Loop Header: Depth=2
                                        ;       Child Loop BB4_52 Depth 3
	global_load_b32 v30, v28, s[68:69] scale_offset
	s_and_not1_b32 vcc_lo, exec_lo, s87
	s_cbranch_vccnz .LBB4_49
; %bb.51:                               ;   in Loop: Header=BB4_50 Depth=2
	s_mov_b64 s[70:71], 0
	s_mov_b64 s[72:73], s[66:67]
	;; [unrolled: 1-line block ×3, first 2 shown]
	s_mov_b32 s90, s26
.LBB4_52:                               ;   Parent Loop BB4_4 Depth=1
                                        ;     Parent Loop BB4_50 Depth=2
                                        ; =>    This Inner Loop Header: Depth=3
	s_wait_xcnt 0x0
	v_add_nc_u64_e32 v[32:33], s[70:71], v[26:27]
	s_add_co_i32 s90, s90, -1
	s_clause 0x1
	global_load_b32 v34, v1, s[74:75]
	global_load_b32 v31, v1, s[72:73]
	global_load_b32 v35, v[32:33], off
	s_wait_loadcnt 0x3
	s_wait_xcnt 0x0
	v_mov_b32_e32 v32, v30
	s_add_nc_u64 s[74:75], s[74:75], -4
	s_cmp_eq_u32 s90, 0
	s_add_nc_u64 s[72:73], s[72:73], -4
	s_wait_loadcnt 0x2
	v_mov_b32_e32 v33, v34
	s_wait_loadcnt 0x0
	v_pk_mul_f32 v[36:37], v[30:31], v[34:35]
	s_delay_alu instid0(VALU_DEP_1) | instskip(NEXT) | instid1(VALU_DEP_1)
	v_dual_mov_b32 v34, v31 :: v_dual_sub_f32 v29, v36, v37
	v_pk_mul_f32 v[30:31], v[32:33], v[34:35]
	v_add_nc_u64_e32 v[32:33], s[70:71], v[24:25]
	s_sub_nc_u64 s[70:71], s[70:71], s[42:43]
	s_delay_alu instid0(VALU_DEP_2)
	v_add_f32_e32 v30, v30, v31
	global_store_b32 v[32:33], v29, off
	s_cbranch_scc0 .LBB4_52
	s_branch .LBB4_49
.LBB4_53:                               ;   in Loop: Header=BB4_4 Depth=1
	s_or_b32 exec_lo, exec_lo, s47
.LBB4_54:                               ;   in Loop: Header=BB4_4 Depth=1
	s_mov_b32 s47, 0
.LBB4_55:                               ;   in Loop: Header=BB4_4 Depth=1
	s_delay_alu instid0(SALU_CYCLE_1)
	s_and_not1_b32 vcc_lo, exec_lo, s47
	s_cbranch_vccnz .LBB4_62
; %bb.56:                               ;   in Loop: Header=BB4_4 Depth=1
	s_and_saveexec_b32 s47, s0
	s_cbranch_execz .LBB4_61
; %bb.57:                               ;   in Loop: Header=BB4_4 Depth=1
	v_mov_b32_e32 v24, v0
	s_lshl_b64 s[64:65], s[28:29], 2
	s_mov_b32 s70, 0
	s_add_nc_u64 s[64:65], s[56:57], s[64:65]
	s_branch .LBB4_59
.LBB4_58:                               ;   in Loop: Header=BB4_59 Depth=2
	v_ashrrev_i32_e32 v25, 31, v24
	v_add_nc_u64_e32 v[22:23], s[40:41], v[22:23]
	s_delay_alu instid0(VALU_DEP_2)
	v_lshl_add_u64 v[28:29], v[24:25], 2, s[64:65]
	s_wait_xcnt 0x0
	v_add_nc_u32_e32 v24, s12, v24
	s_wait_loadcnt 0x0
	global_store_b32 v[28:29], v26, off
	v_cmp_le_i32_e32 vcc_lo, s15, v24
	s_or_b32 s70, vcc_lo, s70
	s_wait_xcnt 0x0
	s_and_not1_b32 exec_lo, exec_lo, s70
	s_cbranch_execz .LBB4_61
.LBB4_59:                               ;   Parent Loop BB4_4 Depth=1
                                        ; =>  This Loop Header: Depth=2
                                        ;       Child Loop BB4_60 Depth 3
	global_load_b32 v26, v24, s[56:57] scale_offset
	v_mov_b64_e32 v[28:29], v[22:23]
	s_and_not1_b32 vcc_lo, exec_lo, s87
	s_mov_b64 s[66:67], s[54:55]
	s_mov_b64 s[68:69], s[52:53]
	s_mov_b32 s71, s26
	s_cbranch_vccnz .LBB4_58
.LBB4_60:                               ;   Parent Loop BB4_4 Depth=1
                                        ;     Parent Loop BB4_59 Depth=2
                                        ; =>    This Inner Loop Header: Depth=3
	s_delay_alu instid0(VALU_DEP_1)
	v_add_nc_u64_e32 v[30:31], s[42:43], v[28:29]
	s_add_co_i32 s71, s71, -1
	s_clause 0x1
	global_load_b32 v32, v1, s[68:69]
	global_load_b32 v27, v1, s[66:67]
	global_load_b32 v33, v[30:31], off
	s_wait_loadcnt 0x3
	v_mov_b32_e32 v35, v26
	s_wait_xcnt 0x2
	s_add_nc_u64 s[68:69], s[68:69], 4
	s_cmp_eq_u32 s71, 0
	s_wait_xcnt 0x1
	s_add_nc_u64 s[66:67], s[66:67], 4
	s_wait_loadcnt 0x2
	v_mov_b32_e32 v34, v32
	s_wait_loadcnt 0x0
	v_pk_mul_f32 v[36:37], v[26:27], v[32:33]
	s_delay_alu instid0(VALU_DEP_1) | instskip(NEXT) | instid1(VALU_DEP_1)
	v_dual_mov_b32 v26, v33 :: v_dual_add_f32 v25, v36, v37
	v_pk_mul_f32 v[26:27], v[34:35], v[26:27]
	global_store_b32 v[28:29], v25, off
	s_wait_xcnt 0x0
	v_mov_b64_e32 v[28:29], v[30:31]
	v_sub_f32_e32 v26, v26, v27
	s_cbranch_scc0 .LBB4_60
	s_branch .LBB4_58
.LBB4_61:                               ;   in Loop: Header=BB4_4 Depth=1
	s_or_b32 exec_lo, exec_lo, s47
.LBB4_62:                               ;   in Loop: Header=BB4_4 Depth=1
	s_mov_b32 s47, 0
.LBB4_63:                               ;   in Loop: Header=BB4_4 Depth=1
	s_delay_alu instid0(SALU_CYCLE_1)
	s_and_not1_b32 vcc_lo, exec_lo, s47
	s_cbranch_vccnz .LBB4_70
; %bb.64:                               ;   in Loop: Header=BB4_4 Depth=1
	s_and_saveexec_b32 s47, s1
	s_cbranch_execz .LBB4_69
; %bb.65:                               ;   in Loop: Header=BB4_4 Depth=1
	v_add_nc_u64_e32 v[22:23], s[62:63], v[12:13]
	v_mov_b32_e32 v24, v0
	s_lshl_b64 s[64:65], s[30:31], 2
	s_mov_b32 s70, 0
	s_add_nc_u64 s[64:65], s[56:57], s[64:65]
	s_branch .LBB4_67
.LBB4_66:                               ;   in Loop: Header=BB4_67 Depth=2
	v_add_nc_u32_e32 v24, s12, v24
	v_add_nc_u64_e32 v[22:23], s[50:51], v[22:23]
	s_wait_loadcnt 0x0
	global_store_b32 v[26:27], v28, off offset:-4
	v_cmp_le_i32_e32 vcc_lo, s23, v24
	s_or_b32 s70, vcc_lo, s70
	s_wait_xcnt 0x0
	s_and_not1_b32 exec_lo, exec_lo, s70
	s_cbranch_execz .LBB4_69
.LBB4_67:                               ;   Parent Loop BB4_4 Depth=1
                                        ; =>  This Loop Header: Depth=2
                                        ;       Child Loop BB4_68 Depth 3
	v_ashrrev_i32_e32 v25, 31, v24
	v_mov_b64_e32 v[30:31], v[22:23]
	s_and_not1_b32 vcc_lo, exec_lo, s88
	s_mov_b64 s[66:67], s[60:61]
	s_mov_b64 s[68:69], s[58:59]
	v_mul_u64_e32 v[26:27], s[20:21], v[24:25]
	s_mov_b32 s71, s46
	s_delay_alu instid0(VALU_DEP_1)
	v_lshl_add_u64 v[26:27], v[26:27], 2, s[64:65]
	global_load_b32 v28, v[26:27], off offset:-4
	s_cbranch_vccnz .LBB4_66
.LBB4_68:                               ;   Parent Loop BB4_4 Depth=1
                                        ;     Parent Loop BB4_67 Depth=2
                                        ; =>    This Inner Loop Header: Depth=3
	s_clause 0x1
	global_load_b32 v29, v1, s[68:69]
	global_load_b32 v32, v1, s[66:67]
	global_load_b32 v33, v[30:31], off
	s_wait_loadcnt 0x3
	v_mov_b32_e32 v34, v28
	s_add_co_i32 s71, s71, -1
	s_wait_xcnt 0x2
	s_add_nc_u64 s[68:69], s[68:69], -4
	s_cmp_eq_u32 s71, 0
	s_wait_xcnt 0x1
	s_add_nc_u64 s[66:67], s[66:67], -4
	s_wait_loadcnt 0x1
	v_mov_b32_e32 v35, v32
	s_wait_loadcnt 0x0
	v_pk_mul_f32 v[36:37], v[28:29], v[32:33]
	s_delay_alu instid0(VALU_DEP_1) | instskip(NEXT) | instid1(VALU_DEP_1)
	v_dual_mov_b32 v32, v29 :: v_dual_add_f32 v25, v36, v37
	v_pk_mul_f32 v[28:29], v[34:35], v[32:33]
	global_store_b32 v[30:31], v25, off
	s_wait_xcnt 0x0
	v_add_nc_u64_e32 v[30:31], -4, v[30:31]
	v_sub_f32_e32 v28, v28, v29
	s_cbranch_scc0 .LBB4_68
	s_branch .LBB4_66
.LBB4_69:                               ;   in Loop: Header=BB4_4 Depth=1
	s_or_b32 exec_lo, exec_lo, s47
.LBB4_70:                               ;   in Loop: Header=BB4_4 Depth=1
	s_mov_b32 s47, 0
.LBB4_71:                               ;   in Loop: Header=BB4_4 Depth=1
	s_delay_alu instid0(SALU_CYCLE_1)
	s_and_not1_b32 vcc_lo, exec_lo, s47
	s_cbranch_vccnz .LBB4_78
; %bb.72:                               ;   in Loop: Header=BB4_4 Depth=1
	s_and_saveexec_b32 s47, s1
	s_cbranch_execz .LBB4_77
; %bb.73:                               ;   in Loop: Header=BB4_4 Depth=1
	v_add_nc_u64_e32 v[22:23], s[62:63], v[10:11]
	v_mov_b32_e32 v24, v0
	s_lshl_b64 s[64:65], s[30:31], 2
	s_mov_b32 s70, 0
	s_add_nc_u64 s[64:65], s[56:57], s[64:65]
	s_branch .LBB4_75
.LBB4_74:                               ;   in Loop: Header=BB4_75 Depth=2
	v_add_nc_u32_e32 v24, s12, v24
	v_add_nc_u64_e32 v[22:23], s[50:51], v[22:23]
	s_wait_loadcnt 0x0
	global_store_b32 v[26:27], v28, off offset:-4
	v_cmp_le_i32_e32 vcc_lo, s23, v24
	s_or_b32 s70, vcc_lo, s70
	s_wait_xcnt 0x0
	s_and_not1_b32 exec_lo, exec_lo, s70
	s_cbranch_execz .LBB4_77
.LBB4_75:                               ;   Parent Loop BB4_4 Depth=1
                                        ; =>  This Loop Header: Depth=2
                                        ;       Child Loop BB4_76 Depth 3
	v_ashrrev_i32_e32 v25, 31, v24
	v_mov_b64_e32 v[30:31], v[22:23]
	s_and_not1_b32 vcc_lo, exec_lo, s88
	s_mov_b64 s[66:67], s[54:55]
	s_mov_b64 s[68:69], s[52:53]
	v_mul_u64_e32 v[26:27], s[20:21], v[24:25]
	s_mov_b32 s71, s46
	s_delay_alu instid0(VALU_DEP_1)
	v_lshl_add_u64 v[26:27], v[26:27], 2, s[64:65]
	global_load_b32 v28, v[26:27], off offset:-4
	s_cbranch_vccnz .LBB4_74
.LBB4_76:                               ;   Parent Loop BB4_4 Depth=1
                                        ;     Parent Loop BB4_75 Depth=2
                                        ; =>    This Inner Loop Header: Depth=3
	s_clause 0x1
	global_load_b32 v29, v1, s[68:69]
	global_load_b32 v32, v1, s[66:67]
	global_load_b32 v33, v[30:31], off
	s_wait_loadcnt 0x3
	v_mov_b32_e32 v34, v28
	s_add_co_i32 s71, s71, -1
	s_wait_xcnt 0x2
	s_add_nc_u64 s[68:69], s[68:69], 4
	s_cmp_eq_u32 s71, 0
	s_wait_xcnt 0x1
	s_add_nc_u64 s[66:67], s[66:67], 4
	s_wait_loadcnt 0x1
	v_mov_b32_e32 v35, v32
	s_wait_loadcnt 0x0
	v_pk_mul_f32 v[36:37], v[28:29], v[32:33]
	s_delay_alu instid0(VALU_DEP_1) | instskip(NEXT) | instid1(VALU_DEP_1)
	v_dual_mov_b32 v32, v29 :: v_dual_add_f32 v25, v36, v37
	v_pk_mul_f32 v[28:29], v[34:35], v[32:33]
	global_store_b32 v[30:31], v25, off
	s_wait_xcnt 0x0
	v_add_nc_u64_e32 v[30:31], 4, v[30:31]
	v_sub_f32_e32 v28, v28, v29
	s_cbranch_scc0 .LBB4_76
	s_branch .LBB4_74
.LBB4_77:                               ;   in Loop: Header=BB4_4 Depth=1
	s_or_b32 exec_lo, exec_lo, s47
.LBB4_78:                               ;   in Loop: Header=BB4_4 Depth=1
	s_mov_b32 s47, 0
.LBB4_79:                               ;   in Loop: Header=BB4_4 Depth=1
	s_delay_alu instid0(SALU_CYCLE_1)
	s_and_not1_b32 vcc_lo, exec_lo, s47
	s_cbranch_vccnz .LBB4_86
; %bb.80:                               ;   in Loop: Header=BB4_4 Depth=1
	s_and_saveexec_b32 s47, s1
	s_cbranch_execz .LBB4_85
; %bb.81:                               ;   in Loop: Header=BB4_4 Depth=1
	v_add_nc_u64_e32 v[22:23], s[62:63], v[14:15]
	v_mov_b32_e32 v24, v0
	s_mov_b32 s68, 0
	s_branch .LBB4_83
.LBB4_82:                               ;   in Loop: Header=BB4_83 Depth=2
	v_add_nc_u32_e32 v24, s12, v24
	v_add_nc_u64_e32 v[22:23], s[50:51], v[22:23]
	s_wait_loadcnt 0x0
	global_store_b32 v[26:27], v29, off
	v_cmp_le_i32_e32 vcc_lo, s23, v24
	s_or_b32 s68, vcc_lo, s68
	s_wait_xcnt 0x0
	s_and_not1_b32 exec_lo, exec_lo, s68
	s_cbranch_execz .LBB4_85
.LBB4_83:                               ;   Parent Loop BB4_4 Depth=1
                                        ; =>  This Loop Header: Depth=2
                                        ;       Child Loop BB4_84 Depth 3
	s_delay_alu instid0(VALU_DEP_1) | instskip(NEXT) | instid1(VALU_DEP_3)
	v_ashrrev_i32_e32 v25, 31, v24
	v_mov_b64_e32 v[30:31], v[22:23]
	s_and_not1_b32 vcc_lo, exec_lo, s88
	s_mov_b64 s[64:65], s[60:61]
	s_mov_b64 s[66:67], s[58:59]
	v_mul_u64_e32 v[26:27], s[20:21], v[24:25]
	s_mov_b32 s69, s13
	s_delay_alu instid0(VALU_DEP_1)
	v_lshl_add_u64 v[26:27], v[26:27], 2, s[56:57]
	global_load_b32 v29, v[26:27], off
	s_cbranch_vccnz .LBB4_82
.LBB4_84:                               ;   Parent Loop BB4_4 Depth=1
                                        ;     Parent Loop BB4_83 Depth=2
                                        ; =>    This Inner Loop Header: Depth=3
	s_clause 0x1
	global_load_b32 v28, v1, s[66:67]
	global_load_b32 v33, v1, s[64:65]
	global_load_b32 v32, v[30:31], off
	s_wait_loadcnt 0x3
	v_mov_b32_e32 v34, v29
	s_add_co_i32 s69, s69, -1
	s_wait_xcnt 0x2
	s_add_nc_u64 s[66:67], s[66:67], -4
	s_cmp_lt_u32 s69, 3
	s_wait_xcnt 0x1
	s_add_nc_u64 s[64:65], s[64:65], -4
	s_wait_loadcnt 0x1
	v_mov_b32_e32 v35, v33
	s_wait_loadcnt 0x0
	v_pk_mul_f32 v[36:37], v[28:29], v[32:33]
	v_mov_b32_e32 v29, v32
	s_delay_alu instid0(VALU_DEP_2) | instskip(NEXT) | instid1(VALU_DEP_2)
	v_sub_f32_e32 v25, v36, v37
	v_pk_mul_f32 v[28:29], v[34:35], v[28:29]
	global_store_b32 v[30:31], v25, off
	s_wait_xcnt 0x0
	v_add_nc_u64_e32 v[30:31], -4, v[30:31]
	v_add_f32_e32 v29, v28, v29
	s_cbranch_scc0 .LBB4_84
	s_branch .LBB4_82
.LBB4_85:                               ;   in Loop: Header=BB4_4 Depth=1
	s_or_b32 exec_lo, exec_lo, s47
.LBB4_86:                               ;   in Loop: Header=BB4_4 Depth=1
	s_mov_b32 s47, 0
.LBB4_87:                               ;   in Loop: Header=BB4_4 Depth=1
	s_delay_alu instid0(SALU_CYCLE_1)
	s_and_not1_b32 vcc_lo, exec_lo, s47
	s_cbranch_vccnz .LBB4_94
; %bb.88:                               ;   in Loop: Header=BB4_4 Depth=1
	s_and_saveexec_b32 s47, s1
	s_cbranch_execz .LBB4_93
; %bb.89:                               ;   in Loop: Header=BB4_4 Depth=1
	v_mov_b64_e32 v[22:23], v[20:21]
	v_mov_b32_e32 v24, v0
	s_mov_b32 s68, 0
	s_branch .LBB4_91
.LBB4_90:                               ;   in Loop: Header=BB4_91 Depth=2
	v_add_nc_u32_e32 v24, s12, v24
	v_add_nc_u64_e32 v[22:23], s[50:51], v[22:23]
	s_wait_loadcnt 0x0
	global_store_b32 v[26:27], v29, off
	v_cmp_le_i32_e32 vcc_lo, s23, v24
	s_or_b32 s68, vcc_lo, s68
	s_wait_xcnt 0x0
	s_and_not1_b32 exec_lo, exec_lo, s68
	s_cbranch_execz .LBB4_93
.LBB4_91:                               ;   Parent Loop BB4_4 Depth=1
                                        ; =>  This Loop Header: Depth=2
                                        ;       Child Loop BB4_92 Depth 3
	s_delay_alu instid0(VALU_DEP_1) | instskip(NEXT) | instid1(VALU_DEP_3)
	v_ashrrev_i32_e32 v25, 31, v24
	v_mov_b64_e32 v[30:31], v[22:23]
	s_and_not1_b32 vcc_lo, exec_lo, s88
	s_mov_b32 s69, s46
	s_mov_b64 s[64:65], s[52:53]
	v_mul_u64_e32 v[26:27], s[20:21], v[24:25]
	s_mov_b64 s[66:67], s[54:55]
	s_delay_alu instid0(VALU_DEP_1)
	v_lshl_add_u64 v[26:27], v[26:27], 2, s[56:57]
	global_load_b32 v29, v[26:27], off
	s_cbranch_vccnz .LBB4_90
.LBB4_92:                               ;   Parent Loop BB4_4 Depth=1
                                        ;     Parent Loop BB4_91 Depth=2
                                        ; =>    This Inner Loop Header: Depth=3
	s_clause 0x1
	global_load_b32 v28, v1, s[64:65]
	global_load_b32 v33, v1, s[66:67]
	global_load_b32 v32, v[30:31], off
	s_wait_loadcnt 0x3
	v_mov_b32_e32 v34, v29
	s_add_co_i32 s69, s69, -1
	s_wait_xcnt 0x1
	s_add_nc_u64 s[66:67], s[66:67], 4
	s_cmp_eq_u32 s69, 0
	s_add_nc_u64 s[64:65], s[64:65], 4
	s_wait_loadcnt 0x1
	v_mov_b32_e32 v35, v33
	s_wait_loadcnt 0x0
	v_pk_mul_f32 v[36:37], v[28:29], v[32:33]
	v_mov_b32_e32 v29, v32
	s_delay_alu instid0(VALU_DEP_2) | instskip(NEXT) | instid1(VALU_DEP_2)
	v_sub_f32_e32 v25, v36, v37
	v_pk_mul_f32 v[28:29], v[34:35], v[28:29]
	global_store_b32 v[30:31], v25, off
	s_wait_xcnt 0x0
	v_add_nc_u64_e32 v[30:31], 4, v[30:31]
	v_add_f32_e32 v29, v28, v29
	s_cbranch_scc0 .LBB4_92
	s_branch .LBB4_90
.LBB4_93:                               ;   in Loop: Header=BB4_4 Depth=1
	s_or_b32 exec_lo, exec_lo, s47
.LBB4_94:                               ;   in Loop: Header=BB4_4 Depth=1
	s_mov_b32 s47, 0
.LBB4_95:                               ;   in Loop: Header=BB4_4 Depth=1
	s_delay_alu instid0(SALU_CYCLE_1)
	s_and_not1_b32 vcc_lo, exec_lo, s47
	s_cbranch_vccnz .LBB4_102
; %bb.96:                               ;   in Loop: Header=BB4_4 Depth=1
	s_and_saveexec_b32 s47, s1
	s_cbranch_execz .LBB4_101
; %bb.97:                               ;   in Loop: Header=BB4_4 Depth=1
	v_add_nc_u64_e32 v[22:23], s[62:63], v[18:19]
	v_mov_b32_e32 v24, v0
	s_lshl_b64 s[62:63], s[30:31], 2
	s_mov_b32 s68, 0
	s_add_nc_u64 s[62:63], s[56:57], s[62:63]
	s_branch .LBB4_99
.LBB4_98:                               ;   in Loop: Header=BB4_99 Depth=2
	v_add_nc_u32_e32 v24, s12, v24
	v_add_nc_u64_e32 v[22:23], s[50:51], v[22:23]
	v_lshl_add_u64 v[26:27], v[26:27], 2, s[56:57]
	s_delay_alu instid0(VALU_DEP_3)
	v_cmp_le_i32_e32 vcc_lo, s23, v24
	s_wait_loadcnt 0x0
	global_store_b32 v[26:27], v28, off
	s_or_b32 s68, vcc_lo, s68
	s_wait_xcnt 0x0
	s_and_not1_b32 exec_lo, exec_lo, s68
	s_cbranch_execz .LBB4_101
.LBB4_99:                               ;   Parent Loop BB4_4 Depth=1
                                        ; =>  This Loop Header: Depth=2
                                        ;       Child Loop BB4_100 Depth 3
	v_ashrrev_i32_e32 v25, 31, v24
	v_mov_b64_e32 v[30:31], v[22:23]
	s_and_not1_b32 vcc_lo, exec_lo, s88
	s_mov_b64 s[64:65], s[60:61]
	s_mov_b64 s[66:67], s[58:59]
	v_mul_u64_e32 v[26:27], s[20:21], v[24:25]
	s_mov_b32 s69, s46
	s_delay_alu instid0(VALU_DEP_1)
	v_lshl_add_u64 v[28:29], v[26:27], 2, s[62:63]
	global_load_b32 v28, v[28:29], off offset:-4
	s_cbranch_vccnz .LBB4_98
.LBB4_100:                              ;   Parent Loop BB4_4 Depth=1
                                        ;     Parent Loop BB4_99 Depth=2
                                        ; =>    This Inner Loop Header: Depth=3
	s_clause 0x1
	global_load_b32 v32, v1, s[66:67]
	global_load_b32 v29, v1, s[64:65]
	global_load_b32 v33, v[30:31], off offset:-4
	s_wait_loadcnt 0x3
	v_mov_b32_e32 v34, v28
	v_add_nc_u64_e32 v[38:39], -4, v[30:31]
	s_add_co_i32 s69, s69, -1
	s_wait_xcnt 0x2
	s_add_nc_u64 s[66:67], s[66:67], -4
	s_cmp_eq_u32 s69, 0
	s_wait_xcnt 0x1
	s_add_nc_u64 s[64:65], s[64:65], -4
	s_wait_loadcnt 0x2
	v_mov_b32_e32 v35, v32
	s_wait_loadcnt 0x0
	v_pk_mul_f32 v[36:37], v[28:29], v[32:33]
	s_delay_alu instid0(VALU_DEP_1) | instskip(NEXT) | instid1(VALU_DEP_1)
	v_dual_mov_b32 v32, v29 :: v_dual_sub_f32 v25, v36, v37
	v_pk_mul_f32 v[28:29], v[34:35], v[32:33]
	global_store_b32 v[30:31], v25, off
	s_wait_xcnt 0x0
	v_mov_b64_e32 v[30:31], v[38:39]
	v_add_f32_e32 v28, v28, v29
	s_cbranch_scc0 .LBB4_100
	s_branch .LBB4_98
.LBB4_101:                              ;   in Loop: Header=BB4_4 Depth=1
	s_or_b32 exec_lo, exec_lo, s47
.LBB4_102:                              ;   in Loop: Header=BB4_4 Depth=1
	s_cbranch_execnz .LBB4_3
.LBB4_103:                              ;   in Loop: Header=BB4_4 Depth=1
	s_and_saveexec_b32 s47, s1
	s_cbranch_execz .LBB4_2
; %bb.104:                              ;   in Loop: Header=BB4_4 Depth=1
	v_mov_b32_e32 v22, v0
	s_lshl_b64 s[58:59], s[30:31], 2
	s_mov_b32 s64, 0
	s_add_nc_u64 s[58:59], s[56:57], s[58:59]
	s_branch .LBB4_106
.LBB4_105:                              ;   in Loop: Header=BB4_106 Depth=2
	v_add_nc_u32_e32 v22, s12, v22
	v_add_nc_u64_e32 v[20:21], s[50:51], v[20:21]
	v_lshl_add_u64 v[24:25], v[24:25], 2, s[58:59]
	s_delay_alu instid0(VALU_DEP_3)
	v_cmp_le_i32_e32 vcc_lo, s23, v22
	s_wait_loadcnt 0x0
	global_store_b32 v[24:25], v26, off offset:-4
	s_or_b32 s64, vcc_lo, s64
	s_wait_xcnt 0x0
	s_and_not1_b32 exec_lo, exec_lo, s64
	s_cbranch_execz .LBB4_2
.LBB4_106:                              ;   Parent Loop BB4_4 Depth=1
                                        ; =>  This Loop Header: Depth=2
                                        ;       Child Loop BB4_107 Depth 3
	v_ashrrev_i32_e32 v23, 31, v22
	v_mov_b64_e32 v[28:29], v[20:21]
	s_and_not1_b32 vcc_lo, exec_lo, s88
	s_mov_b64 s[60:61], s[54:55]
	s_mov_b64 s[62:63], s[52:53]
	v_mul_u64_e32 v[24:25], s[20:21], v[22:23]
	s_mov_b32 s65, s46
	s_delay_alu instid0(VALU_DEP_1)
	v_lshl_add_u64 v[26:27], v[24:25], 2, s[56:57]
	global_load_b32 v26, v[26:27], off
	s_cbranch_vccnz .LBB4_105
.LBB4_107:                              ;   Parent Loop BB4_4 Depth=1
                                        ;     Parent Loop BB4_106 Depth=2
                                        ; =>    This Inner Loop Header: Depth=3
	s_clause 0x1
	global_load_b32 v30, v1, s[62:63]
	global_load_b32 v27, v1, s[60:61]
	global_load_b32 v31, v[28:29], off
	s_wait_loadcnt 0x3
	v_mov_b32_e32 v33, v26
	s_add_co_i32 s65, s65, -1
	s_wait_xcnt 0x2
	s_add_nc_u64 s[62:63], s[62:63], 4
	s_cmp_eq_u32 s65, 0
	s_wait_xcnt 0x1
	s_add_nc_u64 s[60:61], s[60:61], 4
	s_wait_loadcnt 0x2
	v_mov_b32_e32 v32, v30
	s_wait_loadcnt 0x0
	v_pk_mul_f32 v[34:35], v[26:27], v[30:31]
	s_delay_alu instid0(VALU_DEP_1) | instskip(NEXT) | instid1(VALU_DEP_1)
	v_dual_mov_b32 v26, v31 :: v_dual_add_f32 v23, v34, v35
	v_pk_mul_f32 v[26:27], v[32:33], v[26:27]
	global_store_b32 v[28:29], v23, off offset:-4
	s_wait_xcnt 0x0
	v_add_nc_u64_e32 v[28:29], 4, v[28:29]
	v_sub_f32_e32 v26, v26, v27
	s_cbranch_scc0 .LBB4_107
	s_branch .LBB4_105
.LBB4_108:
	s_endpgm
	.section	.rodata,"a",@progbits
	.p2align	6, 0x0
	.amdhsa_kernel _ZN9rocsolver6v33100L11lasr_kernelIffPfiEEv13rocblas_side_14rocblas_pivot_15rocblas_direct_T2_S6_PT0_lS8_lT1_lS6_lS6_
		.amdhsa_group_segment_fixed_size 0
		.amdhsa_private_segment_fixed_size 0
		.amdhsa_kernarg_size 352
		.amdhsa_user_sgpr_count 2
		.amdhsa_user_sgpr_dispatch_ptr 0
		.amdhsa_user_sgpr_queue_ptr 0
		.amdhsa_user_sgpr_kernarg_segment_ptr 1
		.amdhsa_user_sgpr_dispatch_id 0
		.amdhsa_user_sgpr_kernarg_preload_length 0
		.amdhsa_user_sgpr_kernarg_preload_offset 0
		.amdhsa_user_sgpr_private_segment_size 0
		.amdhsa_wavefront_size32 1
		.amdhsa_uses_dynamic_stack 0
		.amdhsa_enable_private_segment 0
		.amdhsa_system_sgpr_workgroup_id_x 1
		.amdhsa_system_sgpr_workgroup_id_y 0
		.amdhsa_system_sgpr_workgroup_id_z 1
		.amdhsa_system_sgpr_workgroup_info 0
		.amdhsa_system_vgpr_workitem_id 0
		.amdhsa_next_free_vgpr 42
		.amdhsa_next_free_sgpr 91
		.amdhsa_named_barrier_count 0
		.amdhsa_reserve_vcc 1
		.amdhsa_float_round_mode_32 0
		.amdhsa_float_round_mode_16_64 0
		.amdhsa_float_denorm_mode_32 3
		.amdhsa_float_denorm_mode_16_64 3
		.amdhsa_fp16_overflow 0
		.amdhsa_memory_ordered 1
		.amdhsa_forward_progress 1
		.amdhsa_inst_pref_size 35
		.amdhsa_round_robin_scheduling 0
		.amdhsa_exception_fp_ieee_invalid_op 0
		.amdhsa_exception_fp_denorm_src 0
		.amdhsa_exception_fp_ieee_div_zero 0
		.amdhsa_exception_fp_ieee_overflow 0
		.amdhsa_exception_fp_ieee_underflow 0
		.amdhsa_exception_fp_ieee_inexact 0
		.amdhsa_exception_int_div_zero 0
	.end_amdhsa_kernel
	.section	.text._ZN9rocsolver6v33100L11lasr_kernelIffPfiEEv13rocblas_side_14rocblas_pivot_15rocblas_direct_T2_S6_PT0_lS8_lT1_lS6_lS6_,"axG",@progbits,_ZN9rocsolver6v33100L11lasr_kernelIffPfiEEv13rocblas_side_14rocblas_pivot_15rocblas_direct_T2_S6_PT0_lS8_lT1_lS6_lS6_,comdat
.Lfunc_end4:
	.size	_ZN9rocsolver6v33100L11lasr_kernelIffPfiEEv13rocblas_side_14rocblas_pivot_15rocblas_direct_T2_S6_PT0_lS8_lT1_lS6_lS6_, .Lfunc_end4-_ZN9rocsolver6v33100L11lasr_kernelIffPfiEEv13rocblas_side_14rocblas_pivot_15rocblas_direct_T2_S6_PT0_lS8_lT1_lS6_lS6_
                                        ; -- End function
	.set _ZN9rocsolver6v33100L11lasr_kernelIffPfiEEv13rocblas_side_14rocblas_pivot_15rocblas_direct_T2_S6_PT0_lS8_lT1_lS6_lS6_.num_vgpr, 42
	.set _ZN9rocsolver6v33100L11lasr_kernelIffPfiEEv13rocblas_side_14rocblas_pivot_15rocblas_direct_T2_S6_PT0_lS8_lT1_lS6_lS6_.num_agpr, 0
	.set _ZN9rocsolver6v33100L11lasr_kernelIffPfiEEv13rocblas_side_14rocblas_pivot_15rocblas_direct_T2_S6_PT0_lS8_lT1_lS6_lS6_.numbered_sgpr, 91
	.set _ZN9rocsolver6v33100L11lasr_kernelIffPfiEEv13rocblas_side_14rocblas_pivot_15rocblas_direct_T2_S6_PT0_lS8_lT1_lS6_lS6_.num_named_barrier, 0
	.set _ZN9rocsolver6v33100L11lasr_kernelIffPfiEEv13rocblas_side_14rocblas_pivot_15rocblas_direct_T2_S6_PT0_lS8_lT1_lS6_lS6_.private_seg_size, 0
	.set _ZN9rocsolver6v33100L11lasr_kernelIffPfiEEv13rocblas_side_14rocblas_pivot_15rocblas_direct_T2_S6_PT0_lS8_lT1_lS6_lS6_.uses_vcc, 1
	.set _ZN9rocsolver6v33100L11lasr_kernelIffPfiEEv13rocblas_side_14rocblas_pivot_15rocblas_direct_T2_S6_PT0_lS8_lT1_lS6_lS6_.uses_flat_scratch, 0
	.set _ZN9rocsolver6v33100L11lasr_kernelIffPfiEEv13rocblas_side_14rocblas_pivot_15rocblas_direct_T2_S6_PT0_lS8_lT1_lS6_lS6_.has_dyn_sized_stack, 0
	.set _ZN9rocsolver6v33100L11lasr_kernelIffPfiEEv13rocblas_side_14rocblas_pivot_15rocblas_direct_T2_S6_PT0_lS8_lT1_lS6_lS6_.has_recursion, 0
	.set _ZN9rocsolver6v33100L11lasr_kernelIffPfiEEv13rocblas_side_14rocblas_pivot_15rocblas_direct_T2_S6_PT0_lS8_lT1_lS6_lS6_.has_indirect_call, 0
	.section	.AMDGPU.csdata,"",@progbits
; Kernel info:
; codeLenInByte = 4396
; TotalNumSgprs: 93
; NumVgprs: 42
; ScratchSize: 0
; MemoryBound: 0
; FloatMode: 240
; IeeeMode: 1
; LDSByteSize: 0 bytes/workgroup (compile time only)
; SGPRBlocks: 0
; VGPRBlocks: 2
; NumSGPRsForWavesPerEU: 93
; NumVGPRsForWavesPerEU: 42
; NamedBarCnt: 0
; Occupancy: 16
; WaveLimiterHint : 0
; COMPUTE_PGM_RSRC2:SCRATCH_EN: 0
; COMPUTE_PGM_RSRC2:USER_SGPR: 2
; COMPUTE_PGM_RSRC2:TRAP_HANDLER: 0
; COMPUTE_PGM_RSRC2:TGID_X_EN: 1
; COMPUTE_PGM_RSRC2:TGID_Y_EN: 0
; COMPUTE_PGM_RSRC2:TGID_Z_EN: 1
; COMPUTE_PGM_RSRC2:TIDIG_COMP_CNT: 0
	.section	.text._ZN9rocsolver6v33100L11scal_kernelIffiEEvT1_T_PT0_S2_,"axG",@progbits,_ZN9rocsolver6v33100L11scal_kernelIffiEEvT1_T_PT0_S2_,comdat
	.globl	_ZN9rocsolver6v33100L11scal_kernelIffiEEvT1_T_PT0_S2_ ; -- Begin function _ZN9rocsolver6v33100L11scal_kernelIffiEEvT1_T_PT0_S2_
	.p2align	8
	.type	_ZN9rocsolver6v33100L11scal_kernelIffiEEvT1_T_PT0_S2_,@function
_ZN9rocsolver6v33100L11scal_kernelIffiEEvT1_T_PT0_S2_: ; @_ZN9rocsolver6v33100L11scal_kernelIffiEEvT1_T_PT0_S2_
; %bb.0:
	s_load_b64 s[2:3], s[0:1], 0x0
	s_wait_kmcnt 0x0
	s_cmp_lt_i32 s2, 1
	s_cbranch_scc1 .LBB5_10
; %bb.1:
	s_clause 0x2
	s_load_b32 s7, s[0:1], 0x24
	s_load_b96 s[4:6], s[0:1], 0x8
	s_load_b32 s8, s[0:1], 0x18
	s_wait_xcnt 0x0
	s_bfe_u32 s0, ttmp6, 0x4000c
	s_and_b32 s1, ttmp6, 15
	s_add_co_i32 s0, s0, 1
	s_getreg_b32 s9, hwreg(HW_REG_IB_STS2, 6, 4)
	s_mul_i32 s0, ttmp9, s0
	s_delay_alu instid0(SALU_CYCLE_1)
	s_add_co_i32 s1, s1, s0
	s_wait_kmcnt 0x0
	s_and_b32 s7, s7, 0xffff
	s_cmp_eq_u32 s9, 0
	s_mul_i32 s8, s8, s7
	s_cselect_b32 s0, ttmp9, s1
	s_cmp_eq_u32 s6, 1
	v_mad_u32 v0, s0, s7, v0
	s_mov_b32 s1, -1
	s_delay_alu instid0(VALU_DEP_1)
	v_cmp_gt_i32_e64 s0, s2, v0
	s_cbranch_scc1 .LBB5_6
; %bb.2:
	s_and_saveexec_b32 s1, s0
	s_cbranch_execz .LBB5_5
; %bb.3:
	v_ashrrev_i32_e32 v1, 31, v0
	s_ashr_i32 s7, s6, 31
	s_ashr_i32 s9, s8, 31
	s_delay_alu instid0(VALU_DEP_1) | instskip(SKIP_4) | instid1(VALU_DEP_2)
	v_mul_u64_e32 v[2:3], s[6:7], v[0:1]
	v_mov_b32_e32 v1, v0
	s_mul_u64 s[6:7], s[6:7], s[8:9]
	s_mov_b32 s9, 0
	s_lshl_b64 s[6:7], s[6:7], 2
	v_lshl_add_u64 v[2:3], v[2:3], 2, s[4:5]
.LBB5_4:                                ; =>This Inner Loop Header: Depth=1
	global_load_b32 v4, v[2:3], off
	s_wait_loadcnt 0x0
	v_dual_mul_f32 v4, s3, v4 :: v_dual_add_nc_u32 v1, s8, v1
	s_delay_alu instid0(VALU_DEP_1) | instskip(SKIP_4) | instid1(SALU_CYCLE_1)
	v_cmp_le_i32_e32 vcc_lo, s2, v1
	global_store_b32 v[2:3], v4, off
	s_wait_xcnt 0x0
	v_add_nc_u64_e32 v[2:3], s[6:7], v[2:3]
	s_or_b32 s9, vcc_lo, s9
	s_and_not1_b32 exec_lo, exec_lo, s9
	s_cbranch_execnz .LBB5_4
.LBB5_5:
	s_or_b32 exec_lo, exec_lo, s1
	s_mov_b32 s1, 0
.LBB5_6:
	s_delay_alu instid0(SALU_CYCLE_1)
	s_and_not1_b32 vcc_lo, exec_lo, s1
	s_cbranch_vccnz .LBB5_10
; %bb.7:
	s_and_saveexec_b32 s1, s0
	s_cbranch_execz .LBB5_10
; %bb.8:
	v_ashrrev_i32_e32 v1, 31, v0
	s_ashr_i32 s9, s8, 31
	s_delay_alu instid0(SALU_CYCLE_1) | instskip(NEXT) | instid1(VALU_DEP_1)
	s_lshl_b64 s[0:1], s[8:9], 2
	v_lshl_add_u64 v[2:3], v[0:1], 2, s[4:5]
	s_mov_b32 s4, 0
.LBB5_9:                                ; =>This Inner Loop Header: Depth=1
	global_load_b32 v1, v[2:3], off
	s_wait_loadcnt 0x0
	v_dual_mul_f32 v1, s3, v1 :: v_dual_add_nc_u32 v0, s8, v0
	s_delay_alu instid0(VALU_DEP_1) | instskip(SKIP_4) | instid1(SALU_CYCLE_1)
	v_cmp_le_i32_e32 vcc_lo, s2, v0
	global_store_b32 v[2:3], v1, off
	s_wait_xcnt 0x0
	v_add_nc_u64_e32 v[2:3], s[0:1], v[2:3]
	s_or_b32 s4, vcc_lo, s4
	s_and_not1_b32 exec_lo, exec_lo, s4
	s_cbranch_execnz .LBB5_9
.LBB5_10:
	s_endpgm
	.section	.rodata,"a",@progbits
	.p2align	6, 0x0
	.amdhsa_kernel _ZN9rocsolver6v33100L11scal_kernelIffiEEvT1_T_PT0_S2_
		.amdhsa_group_segment_fixed_size 0
		.amdhsa_private_segment_fixed_size 0
		.amdhsa_kernarg_size 280
		.amdhsa_user_sgpr_count 2
		.amdhsa_user_sgpr_dispatch_ptr 0
		.amdhsa_user_sgpr_queue_ptr 0
		.amdhsa_user_sgpr_kernarg_segment_ptr 1
		.amdhsa_user_sgpr_dispatch_id 0
		.amdhsa_user_sgpr_kernarg_preload_length 0
		.amdhsa_user_sgpr_kernarg_preload_offset 0
		.amdhsa_user_sgpr_private_segment_size 0
		.amdhsa_wavefront_size32 1
		.amdhsa_uses_dynamic_stack 0
		.amdhsa_enable_private_segment 0
		.amdhsa_system_sgpr_workgroup_id_x 1
		.amdhsa_system_sgpr_workgroup_id_y 0
		.amdhsa_system_sgpr_workgroup_id_z 0
		.amdhsa_system_sgpr_workgroup_info 0
		.amdhsa_system_vgpr_workitem_id 0
		.amdhsa_next_free_vgpr 5
		.amdhsa_next_free_sgpr 10
		.amdhsa_named_barrier_count 0
		.amdhsa_reserve_vcc 1
		.amdhsa_float_round_mode_32 0
		.amdhsa_float_round_mode_16_64 0
		.amdhsa_float_denorm_mode_32 3
		.amdhsa_float_denorm_mode_16_64 3
		.amdhsa_fp16_overflow 0
		.amdhsa_memory_ordered 1
		.amdhsa_forward_progress 1
		.amdhsa_inst_pref_size 3
		.amdhsa_round_robin_scheduling 0
		.amdhsa_exception_fp_ieee_invalid_op 0
		.amdhsa_exception_fp_denorm_src 0
		.amdhsa_exception_fp_ieee_div_zero 0
		.amdhsa_exception_fp_ieee_overflow 0
		.amdhsa_exception_fp_ieee_underflow 0
		.amdhsa_exception_fp_ieee_inexact 0
		.amdhsa_exception_int_div_zero 0
	.end_amdhsa_kernel
	.section	.text._ZN9rocsolver6v33100L11scal_kernelIffiEEvT1_T_PT0_S2_,"axG",@progbits,_ZN9rocsolver6v33100L11scal_kernelIffiEEvT1_T_PT0_S2_,comdat
.Lfunc_end5:
	.size	_ZN9rocsolver6v33100L11scal_kernelIffiEEvT1_T_PT0_S2_, .Lfunc_end5-_ZN9rocsolver6v33100L11scal_kernelIffiEEvT1_T_PT0_S2_
                                        ; -- End function
	.set _ZN9rocsolver6v33100L11scal_kernelIffiEEvT1_T_PT0_S2_.num_vgpr, 5
	.set _ZN9rocsolver6v33100L11scal_kernelIffiEEvT1_T_PT0_S2_.num_agpr, 0
	.set _ZN9rocsolver6v33100L11scal_kernelIffiEEvT1_T_PT0_S2_.numbered_sgpr, 10
	.set _ZN9rocsolver6v33100L11scal_kernelIffiEEvT1_T_PT0_S2_.num_named_barrier, 0
	.set _ZN9rocsolver6v33100L11scal_kernelIffiEEvT1_T_PT0_S2_.private_seg_size, 0
	.set _ZN9rocsolver6v33100L11scal_kernelIffiEEvT1_T_PT0_S2_.uses_vcc, 1
	.set _ZN9rocsolver6v33100L11scal_kernelIffiEEvT1_T_PT0_S2_.uses_flat_scratch, 0
	.set _ZN9rocsolver6v33100L11scal_kernelIffiEEvT1_T_PT0_S2_.has_dyn_sized_stack, 0
	.set _ZN9rocsolver6v33100L11scal_kernelIffiEEvT1_T_PT0_S2_.has_recursion, 0
	.set _ZN9rocsolver6v33100L11scal_kernelIffiEEvT1_T_PT0_S2_.has_indirect_call, 0
	.section	.AMDGPU.csdata,"",@progbits
; Kernel info:
; codeLenInByte = 380
; TotalNumSgprs: 12
; NumVgprs: 5
; ScratchSize: 0
; MemoryBound: 0
; FloatMode: 240
; IeeeMode: 1
; LDSByteSize: 0 bytes/workgroup (compile time only)
; SGPRBlocks: 0
; VGPRBlocks: 0
; NumSGPRsForWavesPerEU: 12
; NumVGPRsForWavesPerEU: 5
; NamedBarCnt: 0
; Occupancy: 16
; WaveLimiterHint : 0
; COMPUTE_PGM_RSRC2:SCRATCH_EN: 0
; COMPUTE_PGM_RSRC2:USER_SGPR: 2
; COMPUTE_PGM_RSRC2:TRAP_HANDLER: 0
; COMPUTE_PGM_RSRC2:TGID_X_EN: 1
; COMPUTE_PGM_RSRC2:TGID_Y_EN: 0
; COMPUTE_PGM_RSRC2:TGID_Z_EN: 0
; COMPUTE_PGM_RSRC2:TIDIG_COMP_CNT: 0
	.section	.text._ZN9rocsolver6v33100L17bdsqr_lower2upperIffPfS2_EEviiiPT0_lS4_lT1_iilT2_iilPiS4_lS7_,"axG",@progbits,_ZN9rocsolver6v33100L17bdsqr_lower2upperIffPfS2_EEviiiPT0_lS4_lT1_iilT2_iilPiS4_lS7_,comdat
	.globl	_ZN9rocsolver6v33100L17bdsqr_lower2upperIffPfS2_EEviiiPT0_lS4_lT1_iilT2_iilPiS4_lS7_ ; -- Begin function _ZN9rocsolver6v33100L17bdsqr_lower2upperIffPfS2_EEviiiPT0_lS4_lT1_iilT2_iilPiS4_lS7_
	.p2align	8
	.type	_ZN9rocsolver6v33100L17bdsqr_lower2upperIffPfS2_EEviiiPT0_lS4_lT1_iilT2_iilPiS4_lS7_,@function
_ZN9rocsolver6v33100L17bdsqr_lower2upperIffPfS2_EEviiiPT0_lS4_lT1_iilT2_iilPiS4_lS7_: ; @_ZN9rocsolver6v33100L17bdsqr_lower2upperIffPfS2_EEviiiPT0_lS4_lT1_iilT2_iilPiS4_lS7_
; %bb.0:
	s_load_b64 s[2:3], s[0:1], 0x78
	s_bfe_u32 s4, ttmp6, 0x40010
	s_bfe_u32 s5, ttmp6, 0x40004
	s_add_co_i32 s4, s4, 1
	s_getreg_b32 s6, hwreg(HW_REG_IB_STS2, 6, 4)
	s_mul_i32 s4, ttmp7, s4
	s_delay_alu instid0(SALU_CYCLE_1) | instskip(SKIP_2) | instid1(SALU_CYCLE_1)
	s_add_co_i32 s5, s5, s4
	s_cmp_eq_u32 s6, 0
	s_cselect_b32 s24, ttmp7, s5
	s_ashr_i32 s25, s24, 31
	s_delay_alu instid0(SALU_CYCLE_1)
	s_lshl_b64 s[4:5], s[24:25], 2
	s_wait_kmcnt 0x0
	s_add_nc_u64 s[2:3], s[2:3], s[4:5]
	s_load_b32 s2, s[2:3], 0x8
	s_wait_kmcnt 0x0
	s_cmp_lg_u32 s2, 0
	s_cbranch_scc1 .LBB6_34
; %bb.1:
	s_clause 0x1
	s_load_b256 s[4:11], s[0:1], 0x30
	s_load_b128 s[16:19], s[0:1], 0x68
	s_mov_b64 s[2:3], 0
	s_mov_b64 s[22:23], 0
	s_wait_kmcnt 0x0
	s_cmp_eq_u64 s[4:5], 0
	s_cbranch_scc1 .LBB6_3
; %bb.2:
	s_mul_u64 s[8:9], s[8:9], s[24:25]
	s_ashr_i32 s13, s6, 31
	s_lshl_b64 s[8:9], s[8:9], 2
	s_mov_b32 s12, s6
	s_add_nc_u64 s[4:5], s[4:5], s[8:9]
	s_lshl_b64 s[8:9], s[12:13], 2
	s_delay_alu instid0(SALU_CYCLE_1)
	s_add_nc_u64 s[22:23], s[4:5], s[8:9]
.LBB6_3:
	s_load_b64 s[20:21], s[0:1], 0x50
	s_cmp_eq_u64 s[10:11], 0
	s_cbranch_scc1 .LBB6_5
; %bb.4:
	s_load_b64 s[2:3], s[0:1], 0x58
	s_wait_kmcnt 0x0
	s_ashr_i32 s5, s20, 31
	s_mov_b32 s4, s20
	s_delay_alu instid0(SALU_CYCLE_1) | instskip(SKIP_1) | instid1(SALU_CYCLE_1)
	s_lshl_b64 s[4:5], s[4:5], 2
	s_mul_u64 s[2:3], s[2:3], s[24:25]
	s_lshl_b64 s[2:3], s[2:3], 2
	s_delay_alu instid0(SALU_CYCLE_1) | instskip(NEXT) | instid1(SALU_CYCLE_1)
	s_add_nc_u64 s[2:3], s[10:11], s[2:3]
	s_add_nc_u64 s[2:3], s[2:3], s[4:5]
.LBB6_5:
	s_load_b96 s[4:6], s[0:1], 0x0
	s_mul_u64 s[18:19], s[18:19], s[24:25]
	s_wait_kmcnt 0x0
	s_mov_b32 s20, exec_lo
	v_cmpx_eq_u32_e32 0, v0
	s_cbranch_execz .LBB6_22
; %bb.6:
	s_load_b256 s[8:15], s[0:1], 0x10
	s_add_co_i32 s26, s4, -1
	s_wait_kmcnt 0x0
	s_mul_u64 s[10:11], s[10:11], s[24:25]
	s_delay_alu instid0(SALU_CYCLE_1)
	s_lshl_b64 s[10:11], s[10:11], 2
	s_cmp_lt_i32 s4, 2
	s_add_nc_u64 s[8:9], s[8:9], s[10:11]
	s_load_b32 s10, s[8:9], 0x0
	s_wait_kmcnt 0x0
	v_mov_b32_e32 v3, s10
	s_cbranch_scc1 .LBB6_21
; %bb.7:
	s_mul_u64 s[14:15], s[14:15], s[24:25]
	s_or_b32 s11, s6, s5
	s_lshl_b64 s[14:15], s[14:15], 2
	v_mov_b32_e32 v1, 0
	s_add_nc_u64 s[24:25], s[12:13], s[14:15]
	s_lshl_b64 s[12:13], s[18:19], 2
	s_load_b32 s14, s[24:25], 0x0
	v_mov_b32_e32 v3, s10
	s_cmp_lg_u32 s11, 0
	s_add_nc_u64 s[10:11], s[16:17], s[12:13]
	s_mov_b32 s27, 0
	s_cselect_b32 s28, -1, 0
	s_add_nc_u64 s[12:13], s[10:11], 16
	s_wait_xcnt 0x0
	s_add_nc_u64 s[24:25], s[24:25], 4
	s_wait_kmcnt 0x0
	v_mov_b32_e32 v2, s14
	s_add_nc_u64 s[14:15], s[8:9], 4
	s_branch .LBB6_9
.LBB6_8:                                ;   in Loop: Header=BB6_9 Depth=1
	s_wait_loadcnt 0x0
	v_mul_f32_e32 v3, v5, v3
	s_add_co_i32 s27, s27, 1
	s_wait_xcnt 0x1
	s_add_nc_u64 s[12:13], s[12:13], 4
	s_wait_xcnt 0x0
	s_add_nc_u64 s[14:15], s[14:15], 4
	s_cmp_lg_u32 s26, s27
	s_add_nc_u64 s[24:25], s[24:25], 4
	s_cbranch_scc0 .LBB6_21
.LBB6_9:                                ; =>This Inner Loop Header: Depth=1
	s_delay_alu instid0(VALU_DEP_1)
	v_cmp_eq_f32_e32 vcc_lo, 0, v2
	s_cbranch_vccnz .LBB6_13
; %bb.10:                               ;   in Loop: Header=BB6_9 Depth=1
	v_cmp_neq_f32_e32 vcc_lo, 0, v3
	s_cbranch_vccz .LBB6_14
; %bb.11:                               ;   in Loop: Header=BB6_9 Depth=1
	v_and_b32_e32 v4, 0x7fffffff, v2
	v_and_b32_e32 v5, 0x7fffffff, v3
	s_delay_alu instid0(VALU_DEP_1)
	v_cmp_ngt_f32_e32 vcc_lo, v4, v5
	s_cbranch_vccz .LBB6_15
; %bb.12:                               ;   in Loop: Header=BB6_9 Depth=1
	v_div_scale_f32 v4, null, v3, v3, -v2
	v_div_scale_f32 v7, vcc_lo, -v2, v3, -v2
	s_delay_alu instid0(VALU_DEP_2)
	v_rcp_f32_e32 v5, v4
	v_nop
	v_xor_b32_e32 v4, 0x80000000, v4
	s_delay_alu instid0(TRANS32_DEP_1) | instid1(VALU_DEP_1)
	v_fma_f32 v6, v4, v5, 1.0
	s_delay_alu instid0(VALU_DEP_1) | instskip(NEXT) | instid1(VALU_DEP_1)
	v_fmac_f32_e32 v5, v6, v5
	v_mul_f32_e32 v6, v7, v5
	s_delay_alu instid0(VALU_DEP_1) | instskip(NEXT) | instid1(VALU_DEP_1)
	v_fma_f32 v8, v4, v6, v7
	v_fmac_f32_e32 v6, v8, v5
	s_delay_alu instid0(VALU_DEP_1) | instskip(NEXT) | instid1(VALU_DEP_1)
	v_fmac_f32_e32 v7, v4, v6
	v_div_fmas_f32 v4, v7, v5, v6
	s_delay_alu instid0(VALU_DEP_1) | instskip(NEXT) | instid1(VALU_DEP_1)
	v_div_fixup_f32 v4, v4, v3, -v2
	v_readfirstlane_b32 s29, v4
	s_fmaak_f32 s29, s29, s29, 0x3f800000
	s_delay_alu instid0(SALU_CYCLE_3) | instskip(SKIP_1) | instid1(SALU_CYCLE_2)
	s_mul_f32 s30, s29, 0x4f800000
	s_cmp_lt_f32 s29, 0xf800000
	s_cselect_b32 s30, s30, s29
	s_delay_alu instid0(SALU_CYCLE_1) | instskip(SKIP_1) | instid1(TRANS32_DEP_1)
	v_s_sqrt_f32 s31, s30
	s_mov_b32 s34, s30
	s_add_co_i32 s33, s31, -1
	s_delay_alu instid0(SALU_CYCLE_1) | instskip(NEXT) | instid1(SALU_CYCLE_1)
	s_xor_b32 s35, s33, 0x80000000
	s_fmac_f32 s34, s35, s31
	s_mov_b32 s35, s30
	s_delay_alu instid0(SALU_CYCLE_2) | instskip(SKIP_2) | instid1(SALU_CYCLE_1)
	s_cmp_le_f32 s34, 0
	s_cselect_b32 s33, s33, s31
	s_add_co_i32 s34, s31, 1
	s_xor_b32 s36, s34, 0x80000000
	s_delay_alu instid0(SALU_CYCLE_1) | instskip(SKIP_1) | instid1(SALU_CYCLE_2)
	s_fmac_f32 s35, s36, s31
	v_cmp_class_f32_e64 s31, s30, 0x260
	s_cmp_gt_f32 s35, 0
	s_cselect_b32 s33, s34, s33
	s_cmp_lt_f32 s29, 0xf800000
	s_mul_f32 s29, s33, 0x37800000
	s_delay_alu instid0(SALU_CYCLE_3) | instskip(SKIP_2) | instid1(SALU_CYCLE_1)
	s_cselect_b32 s29, s29, s33
	s_and_b32 s31, s31, exec_lo
	s_cselect_b32 s29, s30, s29
	v_div_scale_f32 v5, null, s29, s29, 1.0
	s_delay_alu instid0(VALU_DEP_1)
	v_rcp_f32_e32 v6, v5
	v_nop
	v_xor_b32_e32 v5, 0x80000000, v5
	s_delay_alu instid0(TRANS32_DEP_1) | instid1(VALU_DEP_1)
	v_fma_f32 v7, v5, v6, 1.0
	s_delay_alu instid0(VALU_DEP_1) | instskip(SKIP_1) | instid1(VALU_DEP_1)
	v_fmac_f32_e32 v6, v7, v6
	v_div_scale_f32 v7, vcc_lo, 1.0, s29, 1.0
	v_mul_f32_e32 v8, v7, v6
	s_delay_alu instid0(VALU_DEP_1) | instskip(NEXT) | instid1(VALU_DEP_1)
	v_fma_f32 v9, v5, v8, v7
	v_fmac_f32_e32 v8, v9, v6
	s_delay_alu instid0(VALU_DEP_1) | instskip(NEXT) | instid1(VALU_DEP_1)
	v_fmac_f32_e32 v7, v5, v8
	v_div_fmas_f32 v5, v7, v6, v8
	s_delay_alu instid0(VALU_DEP_1) | instskip(NEXT) | instid1(VALU_DEP_1)
	v_div_fixup_f32 v5, v5, s29, 1.0
	v_mul_f32_e32 v4, v4, v5
	s_cbranch_execz .LBB6_16
	s_branch .LBB6_17
.LBB6_13:                               ;   in Loop: Header=BB6_9 Depth=1
	v_dual_mov_b32 v5, 1.0 :: v_dual_mov_b32 v4, 0
	s_branch .LBB6_19
.LBB6_14:                               ;   in Loop: Header=BB6_9 Depth=1
	v_xor_b32_e32 v3, 0x80000000, v2
                                        ; implicit-def: $vgpr4
	s_cbranch_execnz .LBB6_18
	s_branch .LBB6_19
.LBB6_15:                               ;   in Loop: Header=BB6_9 Depth=1
                                        ; implicit-def: $vgpr5
.LBB6_16:                               ;   in Loop: Header=BB6_9 Depth=1
	v_div_scale_f32 v4, null, v2, v2, -v3
	v_div_scale_f32 v7, vcc_lo, -v3, v2, -v3
	s_delay_alu instid0(VALU_DEP_2)
	v_rcp_f32_e32 v5, v4
	v_nop
	v_xor_b32_e32 v4, 0x80000000, v4
	s_delay_alu instid0(TRANS32_DEP_1) | instid1(VALU_DEP_1)
	v_fma_f32 v6, v4, v5, 1.0
	s_delay_alu instid0(VALU_DEP_1) | instskip(NEXT) | instid1(VALU_DEP_1)
	v_fmac_f32_e32 v5, v6, v5
	v_mul_f32_e32 v6, v7, v5
	s_delay_alu instid0(VALU_DEP_1) | instskip(NEXT) | instid1(VALU_DEP_1)
	v_fma_f32 v8, v4, v6, v7
	v_fmac_f32_e32 v6, v8, v5
	s_delay_alu instid0(VALU_DEP_1) | instskip(NEXT) | instid1(VALU_DEP_1)
	v_fmac_f32_e32 v7, v4, v6
	v_div_fmas_f32 v4, v7, v5, v6
	s_delay_alu instid0(VALU_DEP_1) | instskip(NEXT) | instid1(VALU_DEP_1)
	v_div_fixup_f32 v5, v4, v2, -v3
	v_readfirstlane_b32 s29, v5
	s_fmaak_f32 s29, s29, s29, 0x3f800000
	s_delay_alu instid0(SALU_CYCLE_3) | instskip(SKIP_1) | instid1(SALU_CYCLE_2)
	s_mul_f32 s30, s29, 0x4f800000
	s_cmp_lt_f32 s29, 0xf800000
	s_cselect_b32 s30, s30, s29
	s_delay_alu instid0(SALU_CYCLE_1) | instskip(SKIP_1) | instid1(TRANS32_DEP_1)
	v_s_sqrt_f32 s31, s30
	s_mov_b32 s34, s30
	s_add_co_i32 s33, s31, -1
	s_delay_alu instid0(SALU_CYCLE_1) | instskip(NEXT) | instid1(SALU_CYCLE_1)
	s_xor_b32 s35, s33, 0x80000000
	s_fmac_f32 s34, s35, s31
	s_mov_b32 s35, s30
	s_delay_alu instid0(SALU_CYCLE_2) | instskip(SKIP_2) | instid1(SALU_CYCLE_1)
	s_cmp_le_f32 s34, 0
	s_cselect_b32 s33, s33, s31
	s_add_co_i32 s34, s31, 1
	s_xor_b32 s36, s34, 0x80000000
	s_delay_alu instid0(SALU_CYCLE_1) | instskip(SKIP_1) | instid1(SALU_CYCLE_2)
	s_fmac_f32 s35, s36, s31
	v_cmp_class_f32_e64 s31, s30, 0x260
	s_cmp_gt_f32 s35, 0
	s_cselect_b32 s33, s34, s33
	s_cmp_lt_f32 s29, 0xf800000
	s_mul_f32 s29, s33, 0x37800000
	s_delay_alu instid0(SALU_CYCLE_3) | instskip(SKIP_2) | instid1(SALU_CYCLE_1)
	s_cselect_b32 s29, s29, s33
	s_and_b32 s31, s31, exec_lo
	s_cselect_b32 s29, s30, s29
	v_div_scale_f32 v4, null, s29, s29, 1.0
	s_delay_alu instid0(VALU_DEP_1)
	v_rcp_f32_e32 v6, v4
	v_nop
	v_xor_b32_e32 v4, 0x80000000, v4
	s_delay_alu instid0(TRANS32_DEP_1) | instid1(VALU_DEP_1)
	v_fma_f32 v7, v4, v6, 1.0
	s_delay_alu instid0(VALU_DEP_1) | instskip(SKIP_1) | instid1(VALU_DEP_1)
	v_fmac_f32_e32 v6, v7, v6
	v_div_scale_f32 v7, vcc_lo, 1.0, s29, 1.0
	v_mul_f32_e32 v8, v7, v6
	s_delay_alu instid0(VALU_DEP_1) | instskip(NEXT) | instid1(VALU_DEP_1)
	v_fma_f32 v9, v4, v8, v7
	v_fmac_f32_e32 v8, v9, v6
	s_delay_alu instid0(VALU_DEP_1) | instskip(NEXT) | instid1(VALU_DEP_1)
	v_fmac_f32_e32 v7, v4, v8
	v_div_fmas_f32 v4, v7, v6, v8
	s_delay_alu instid0(VALU_DEP_1) | instskip(NEXT) | instid1(VALU_DEP_1)
	v_div_fixup_f32 v4, v4, s29, 1.0
	v_mul_f32_e32 v5, v5, v4
.LBB6_17:                               ;   in Loop: Header=BB6_9 Depth=1
	s_delay_alu instid0(VALU_DEP_1) | instskip(NEXT) | instid1(VALU_DEP_1)
	v_pk_mul_f32 v[2:3], v[2:3], v[4:5]
	v_sub_f32_e32 v3, v3, v2
	s_branch .LBB6_19
.LBB6_18:                               ;   in Loop: Header=BB6_9 Depth=1
	v_dual_mov_b32 v4, 1.0 :: v_dual_mov_b32 v5, 0
.LBB6_19:                               ;   in Loop: Header=BB6_9 Depth=1
	global_load_b32 v6, v1, s[14:15]
	v_xor_b32_e32 v7, 0x80000000, v4
	s_clause 0x1
	global_store_b32 v1, v3, s[14:15] offset:-4
	global_load_b32 v2, v1, s[24:25]
	s_and_not1_b32 vcc_lo, exec_lo, s28
	s_wait_loadcnt 0x1
	s_wait_xcnt 0x1
	v_mul_f32_e32 v3, v6, v7
	s_clause 0x1
	global_store_b32 v1, v3, s[24:25] offset:-4
	global_load_b32 v3, v1, s[14:15]
	s_cbranch_vccnz .LBB6_8
; %bb.20:                               ;   in Loop: Header=BB6_9 Depth=1
	s_add_co_i32 s29, s4, s27
	s_delay_alu instid0(SALU_CYCLE_1)
	v_mov_b32_e32 v6, s29
	global_store_b32 v1, v5, s[12:13]
	global_store_b32 v6, v4, s[10:11] offset:16 scale_offset
	s_branch .LBB6_8
.LBB6_21:
	v_mov_b32_e32 v1, s26
	global_store_b32 v1, v3, s[8:9] scale_offset
.LBB6_22:
	s_wait_xcnt 0x0
	s_or_b32 exec_lo, exec_lo, s20
	s_delay_alu instid0(SALU_CYCLE_1)
	s_mov_b32 s20, exec_lo
	s_wait_storecnt 0x0
	s_barrier_signal -1
	s_barrier_wait -1
	v_cmpx_gt_i32_e64 s5, v0
	s_cbranch_execz .LBB6_28
; %bb.23:
	s_load_b32 s26, s[0:1], 0x8c
	s_add_co_i32 s28, s4, -1
	s_cmp_gt_i32 s4, 1
	v_dual_mov_b32 v1, 0 :: v_dual_mov_b32 v2, v0
	s_cselect_b32 s29, -1, 0
	s_lshl_b64 s[24:25], s[18:19], 2
	s_mov_b32 s14, s7
	s_mov_b32 s9, 0
	;; [unrolled: 1-line block ×3, first 2 shown]
	s_mul_i32 s10, s7, s28
	s_ashr_i32 s15, s7, 31
	s_add_nc_u64 s[24:25], s[16:17], s[24:25]
	s_lshl_b64 s[12:13], s[8:9], 2
	s_ashr_i32 s11, s10, 31
	s_lshl_b64 s[14:15], s[14:15], 2
	s_add_nc_u64 s[24:25], s[24:25], 16
	s_wait_kmcnt 0x0
	s_and_b32 s7, s26, 0xffff
	s_branch .LBB6_25
.LBB6_24:                               ;   in Loop: Header=BB6_25 Depth=1
	s_wait_xcnt 0x0
	v_add_nc_u32_e32 v2, s7, v2
	s_delay_alu instid0(VALU_DEP_2) | instskip(NEXT) | instid1(VALU_DEP_2)
	v_lshl_add_u64 v[4:5], s[10:11], 2, v[4:5]
	v_cmp_le_i32_e32 vcc_lo, s5, v2
	s_wait_loadcnt 0x0
	global_store_b32 v[4:5], v6, off
	s_or_b32 s9, vcc_lo, s9
	s_wait_xcnt 0x0
	s_and_not1_b32 exec_lo, exec_lo, s9
	s_cbranch_execz .LBB6_28
.LBB6_25:                               ; =>This Loop Header: Depth=1
                                        ;     Child Loop BB6_27 Depth 2
	global_load_b32 v6, v2, s[22:23] scale_offset
	v_ashrrev_i32_e32 v3, 31, v2
	s_and_not1_b32 vcc_lo, exec_lo, s29
	s_delay_alu instid0(VALU_DEP_1)
	v_lshl_add_u64 v[4:5], v[2:3], 2, s[22:23]
	s_cbranch_vccnz .LBB6_24
; %bb.26:                               ;   in Loop: Header=BB6_25 Depth=1
	s_delay_alu instid0(VALU_DEP_1)
	v_mov_b64_e32 v[8:9], v[4:5]
	s_mov_b32 s8, s28
	s_mov_b64 s[26:27], s[24:25]
.LBB6_27:                               ;   Parent Loop BB6_25 Depth=1
                                        ; =>  This Inner Loop Header: Depth=2
	s_delay_alu instid0(VALU_DEP_1)
	v_add_nc_u64_e32 v[10:11], s[14:15], v[8:9]
	s_add_nc_u64 s[30:31], s[26:27], s[12:13]
	s_add_co_i32 s8, s8, -1
	s_clause 0x1
	global_load_b32 v12, v1, s[26:27]
	global_load_b32 v13, v1, s[30:31]
	global_load_b32 v7, v[10:11], off
	s_wait_loadcnt 0x3
	v_mov_b32_e32 v15, v6
	s_cmp_lg_u32 s8, 0
	s_wait_xcnt 0x2
	s_add_nc_u64 s[26:27], s[26:27], 4
	s_wait_loadcnt 0x0
	v_pk_mul_f32 v[16:17], v[6:7], v[12:13]
	v_mov_b32_e32 v14, v7
	s_delay_alu instid0(VALU_DEP_1) | instskip(NEXT) | instid1(VALU_DEP_1)
	v_pk_mul_f32 v[6:7], v[14:15], v[12:13]
	v_dual_sub_f32 v3, v16, v17 :: v_dual_add_f32 v6, v6, v7
	global_store_b32 v[8:9], v3, off
	s_wait_xcnt 0x0
	v_mov_b64_e32 v[8:9], v[10:11]
	s_cbranch_scc1 .LBB6_27
	s_branch .LBB6_24
.LBB6_28:
	s_or_b32 exec_lo, exec_lo, s20
	s_delay_alu instid0(SALU_CYCLE_1)
	s_mov_b32 s5, exec_lo
	v_cmpx_gt_i32_e64 s6, v0
	s_cbranch_execz .LBB6_34
; %bb.29:
	s_load_b32 s12, s[0:1], 0x8c
	v_mul_lo_u32 v2, v0, s21
	s_wait_xcnt 0x0
	s_add_co_i32 s0, s4, -1
	s_cmp_gt_i32 s4, 1
	v_mov_b32_e32 v1, 0
	s_cselect_b32 s7, -1, 0
	s_lshl_b64 s[10:11], s[18:19], 2
	s_mov_b32 s5, 0
	s_add_nc_u64 s[10:11], s[16:17], s[10:11]
	s_add_nc_u64 s[8:9], s[2:3], 4
	s_ashr_i32 s1, s0, 31
	s_add_nc_u64 s[10:11], s[10:11], 16
	s_wait_kmcnt 0x0
	s_and_b32 s16, s12, 0xffff
	s_lshl_b64 s[12:13], s[4:5], 2
	s_mul_i32 s17, s21, s16
	s_branch .LBB6_31
.LBB6_30:                               ;   in Loop: Header=BB6_31 Depth=1
	v_dual_ashrrev_i32 v7, 31, v6 :: v_dual_add_nc_u32 v0, s16, v0
	v_add_nc_u32_e32 v2, s17, v2
	s_wait_xcnt 0x0
	s_delay_alu instid0(VALU_DEP_2) | instskip(NEXT) | instid1(VALU_DEP_3)
	v_lshl_add_u64 v[6:7], v[6:7], 2, s[2:3]
	v_cmp_le_i32_e32 vcc_lo, s6, v0
	s_delay_alu instid0(VALU_DEP_2)
	v_lshl_add_u64 v[6:7], s[0:1], 2, v[6:7]
	s_or_b32 s5, vcc_lo, s5
	s_wait_loadcnt 0x0
	global_store_b32 v[6:7], v4, off
	s_wait_xcnt 0x0
	s_and_not1_b32 exec_lo, exec_lo, s5
	s_cbranch_execz .LBB6_34
.LBB6_31:                               ; =>This Loop Header: Depth=1
                                        ;     Child Loop BB6_33 Depth 2
	v_mul_lo_u32 v6, v0, s21
	s_and_not1_b32 vcc_lo, exec_lo, s7
	global_load_b32 v4, v6, s[2:3] scale_offset
	s_cbranch_vccnz .LBB6_30
; %bb.32:                               ;   in Loop: Header=BB6_31 Depth=1
	v_ashrrev_i32_e32 v3, 31, v2
	s_mov_b32 s4, s0
	s_mov_b64 s[14:15], s[10:11]
	s_delay_alu instid0(VALU_DEP_1)
	v_lshl_add_u64 v[8:9], v[2:3], 2, s[8:9]
.LBB6_33:                               ;   Parent Loop BB6_31 Depth=1
                                        ; =>  This Inner Loop Header: Depth=2
	s_add_nc_u64 s[18:19], s[14:15], s[12:13]
	global_load_b32 v5, v[8:9], off
	s_clause 0x1
	global_load_b32 v10, v1, s[14:15]
	global_load_b32 v11, v1, s[18:19]
	s_wait_loadcnt 0x3
	v_mov_b32_e32 v15, v4
	s_add_co_i32 s4, s4, -1
	s_wait_xcnt 0x1
	s_add_nc_u64 s[14:15], s[14:15], 4
	s_cmp_lg_u32 s4, 0
	s_wait_loadcnt 0x2
	v_mov_b32_e32 v14, v5
	s_wait_loadcnt 0x0
	v_pk_mul_f32 v[12:13], v[4:5], v[10:11]
	s_delay_alu instid0(VALU_DEP_2) | instskip(NEXT) | instid1(VALU_DEP_2)
	v_pk_mul_f32 v[4:5], v[14:15], v[10:11]
	v_sub_f32_e32 v3, v12, v13
	s_delay_alu instid0(VALU_DEP_2)
	v_add_f32_e32 v4, v4, v5
	global_store_b32 v[8:9], v3, off offset:-4
	s_wait_xcnt 0x0
	v_add_nc_u64_e32 v[8:9], 4, v[8:9]
	s_cbranch_scc1 .LBB6_33
	s_branch .LBB6_30
.LBB6_34:
	s_endpgm
	.section	.rodata,"a",@progbits
	.p2align	6, 0x0
	.amdhsa_kernel _ZN9rocsolver6v33100L17bdsqr_lower2upperIffPfS2_EEviiiPT0_lS4_lT1_iilT2_iilPiS4_lS7_
		.amdhsa_group_segment_fixed_size 0
		.amdhsa_private_segment_fixed_size 0
		.amdhsa_kernarg_size 384
		.amdhsa_user_sgpr_count 2
		.amdhsa_user_sgpr_dispatch_ptr 0
		.amdhsa_user_sgpr_queue_ptr 0
		.amdhsa_user_sgpr_kernarg_segment_ptr 1
		.amdhsa_user_sgpr_dispatch_id 0
		.amdhsa_user_sgpr_kernarg_preload_length 0
		.amdhsa_user_sgpr_kernarg_preload_offset 0
		.amdhsa_user_sgpr_private_segment_size 0
		.amdhsa_wavefront_size32 1
		.amdhsa_uses_dynamic_stack 0
		.amdhsa_enable_private_segment 0
		.amdhsa_system_sgpr_workgroup_id_x 1
		.amdhsa_system_sgpr_workgroup_id_y 1
		.amdhsa_system_sgpr_workgroup_id_z 0
		.amdhsa_system_sgpr_workgroup_info 0
		.amdhsa_system_vgpr_workitem_id 0
		.amdhsa_next_free_vgpr 18
		.amdhsa_next_free_sgpr 37
		.amdhsa_named_barrier_count 0
		.amdhsa_reserve_vcc 1
		.amdhsa_float_round_mode_32 0
		.amdhsa_float_round_mode_16_64 0
		.amdhsa_float_denorm_mode_32 3
		.amdhsa_float_denorm_mode_16_64 3
		.amdhsa_fp16_overflow 0
		.amdhsa_memory_ordered 1
		.amdhsa_forward_progress 1
		.amdhsa_inst_pref_size 18
		.amdhsa_round_robin_scheduling 0
		.amdhsa_exception_fp_ieee_invalid_op 0
		.amdhsa_exception_fp_denorm_src 0
		.amdhsa_exception_fp_ieee_div_zero 0
		.amdhsa_exception_fp_ieee_overflow 0
		.amdhsa_exception_fp_ieee_underflow 0
		.amdhsa_exception_fp_ieee_inexact 0
		.amdhsa_exception_int_div_zero 0
	.end_amdhsa_kernel
	.section	.text._ZN9rocsolver6v33100L17bdsqr_lower2upperIffPfS2_EEviiiPT0_lS4_lT1_iilT2_iilPiS4_lS7_,"axG",@progbits,_ZN9rocsolver6v33100L17bdsqr_lower2upperIffPfS2_EEviiiPT0_lS4_lT1_iilT2_iilPiS4_lS7_,comdat
.Lfunc_end6:
	.size	_ZN9rocsolver6v33100L17bdsqr_lower2upperIffPfS2_EEviiiPT0_lS4_lT1_iilT2_iilPiS4_lS7_, .Lfunc_end6-_ZN9rocsolver6v33100L17bdsqr_lower2upperIffPfS2_EEviiiPT0_lS4_lT1_iilT2_iilPiS4_lS7_
                                        ; -- End function
	.set _ZN9rocsolver6v33100L17bdsqr_lower2upperIffPfS2_EEviiiPT0_lS4_lT1_iilT2_iilPiS4_lS7_.num_vgpr, 18
	.set _ZN9rocsolver6v33100L17bdsqr_lower2upperIffPfS2_EEviiiPT0_lS4_lT1_iilT2_iilPiS4_lS7_.num_agpr, 0
	.set _ZN9rocsolver6v33100L17bdsqr_lower2upperIffPfS2_EEviiiPT0_lS4_lT1_iilT2_iilPiS4_lS7_.numbered_sgpr, 37
	.set _ZN9rocsolver6v33100L17bdsqr_lower2upperIffPfS2_EEviiiPT0_lS4_lT1_iilT2_iilPiS4_lS7_.num_named_barrier, 0
	.set _ZN9rocsolver6v33100L17bdsqr_lower2upperIffPfS2_EEviiiPT0_lS4_lT1_iilT2_iilPiS4_lS7_.private_seg_size, 0
	.set _ZN9rocsolver6v33100L17bdsqr_lower2upperIffPfS2_EEviiiPT0_lS4_lT1_iilT2_iilPiS4_lS7_.uses_vcc, 1
	.set _ZN9rocsolver6v33100L17bdsqr_lower2upperIffPfS2_EEviiiPT0_lS4_lT1_iilT2_iilPiS4_lS7_.uses_flat_scratch, 0
	.set _ZN9rocsolver6v33100L17bdsqr_lower2upperIffPfS2_EEviiiPT0_lS4_lT1_iilT2_iilPiS4_lS7_.has_dyn_sized_stack, 0
	.set _ZN9rocsolver6v33100L17bdsqr_lower2upperIffPfS2_EEviiiPT0_lS4_lT1_iilT2_iilPiS4_lS7_.has_recursion, 0
	.set _ZN9rocsolver6v33100L17bdsqr_lower2upperIffPfS2_EEviiiPT0_lS4_lT1_iilT2_iilPiS4_lS7_.has_indirect_call, 0
	.section	.AMDGPU.csdata,"",@progbits
; Kernel info:
; codeLenInByte = 2200
; TotalNumSgprs: 39
; NumVgprs: 18
; ScratchSize: 0
; MemoryBound: 0
; FloatMode: 240
; IeeeMode: 1
; LDSByteSize: 0 bytes/workgroup (compile time only)
; SGPRBlocks: 0
; VGPRBlocks: 1
; NumSGPRsForWavesPerEU: 39
; NumVGPRsForWavesPerEU: 18
; NamedBarCnt: 0
; Occupancy: 16
; WaveLimiterHint : 0
; COMPUTE_PGM_RSRC2:SCRATCH_EN: 0
; COMPUTE_PGM_RSRC2:USER_SGPR: 2
; COMPUTE_PGM_RSRC2:TRAP_HANDLER: 0
; COMPUTE_PGM_RSRC2:TGID_X_EN: 1
; COMPUTE_PGM_RSRC2:TGID_Y_EN: 1
; COMPUTE_PGM_RSRC2:TGID_Z_EN: 0
; COMPUTE_PGM_RSRC2:TIDIG_COMP_CNT: 0
	.section	.text._ZN9rocsolver6v33100L13bdsqr_computeILi256EffPfS2_S2_EEviiiiPT1_lS4_lT2_iilT3_iilT4_iiliS3_S3_S3_S3_PiS4_ilS8_,"axG",@progbits,_ZN9rocsolver6v33100L13bdsqr_computeILi256EffPfS2_S2_EEviiiiPT1_lS4_lT2_iilT3_iilT4_iiliS3_S3_S3_S3_PiS4_ilS8_,comdat
	.globl	_ZN9rocsolver6v33100L13bdsqr_computeILi256EffPfS2_S2_EEviiiiPT1_lS4_lT2_iilT3_iilT4_iiliS3_S3_S3_S3_PiS4_ilS8_ ; -- Begin function _ZN9rocsolver6v33100L13bdsqr_computeILi256EffPfS2_S2_EEviiiiPT1_lS4_lT2_iilT3_iilT4_iiliS3_S3_S3_S3_PiS4_ilS8_
	.p2align	8
	.type	_ZN9rocsolver6v33100L13bdsqr_computeILi256EffPfS2_S2_EEviiiiPT1_lS4_lT2_iilT3_iilT4_iiliS3_S3_S3_S3_PiS4_ilS8_,@function
_ZN9rocsolver6v33100L13bdsqr_computeILi256EffPfS2_S2_EEviiiiPT1_lS4_lT2_iilT3_iilT4_iiliS3_S3_S3_S3_PiS4_ilS8_: ; @_ZN9rocsolver6v33100L13bdsqr_computeILi256EffPfS2_S2_EEviiiiPT1_lS4_lT2_iilT3_iilT4_iiliS3_S3_S3_S3_PiS4_ilS8_
; %bb.0:
	s_load_b128 s[4:7], s[0:1], 0xa8
	s_bfe_u32 s2, ttmp6, 0x40014
	s_lshr_b32 s3, ttmp7, 16
	s_add_co_i32 s2, s2, 1
	s_bfe_u32 s9, ttmp6, 0x40008
	s_mul_i32 s8, s3, s2
	s_getreg_b32 s2, hwreg(HW_REG_IB_STS2, 6, 4)
	s_add_co_i32 s9, s9, s8
	s_cmp_eq_u32 s2, 0
	s_mov_b32 s47, 0
	s_cselect_b32 s46, s3, s9
	s_wait_kmcnt 0x0
	s_load_b32 s3, s[6:7], s46 offset:0x8 scale_offset
	s_wait_kmcnt 0x0
	s_cmp_lg_u32 s3, 0
	s_cbranch_scc1 .LBB7_171
; %bb.1:
	s_load_b256 s[8:15], s[0:1], 0x30
	s_mov_b64 s[28:29], 0
	s_mov_b64 s[30:31], 0
	s_wait_kmcnt 0x0
	s_cmp_eq_u64 s[8:9], 0
	s_cbranch_scc1 .LBB7_3
; %bb.2:
	s_mul_u64 s[6:7], s[12:13], s[46:47]
	s_ashr_i32 s13, s10, 31
	s_lshl_b64 s[6:7], s[6:7], 2
	s_mov_b32 s12, s10
	s_add_nc_u64 s[6:7], s[8:9], s[6:7]
	s_lshl_b64 s[8:9], s[12:13], 2
	s_delay_alu instid0(SALU_CYCLE_1)
	s_add_nc_u64 s[30:31], s[6:7], s[8:9]
.LBB7_3:
	s_clause 0x1
	s_load_b64 s[8:9], s[0:1], 0x50
	s_load_b128 s[16:19], s[0:1], 0x58
	s_cmp_eq_u64 s[14:15], 0
	s_cbranch_scc1 .LBB7_5
; %bb.4:
	s_wait_kmcnt 0x0
	s_mul_u64 s[6:7], s[16:17], s[46:47]
	s_ashr_i32 s13, s8, 31
	s_lshl_b64 s[6:7], s[6:7], 2
	s_mov_b32 s12, s8
	s_add_nc_u64 s[6:7], s[14:15], s[6:7]
	s_lshl_b64 s[12:13], s[12:13], 2
	s_delay_alu instid0(SALU_CYCLE_1)
	s_add_nc_u64 s[28:29], s[6:7], s[12:13]
.LBB7_5:
	s_load_b64 s[34:35], s[0:1], 0x68
	s_wait_kmcnt 0x0
	s_cmp_eq_u64 s[18:19], 0
	s_mov_b64 s[36:37], 0
	s_cbranch_scc1 .LBB7_7
; %bb.6:
	s_load_b64 s[6:7], s[0:1], 0x70
	s_ashr_i32 s13, s34, 31
	s_mov_b32 s12, s34
	s_delay_alu instid0(SALU_CYCLE_1) | instskip(SKIP_2) | instid1(SALU_CYCLE_1)
	s_lshl_b64 s[12:13], s[12:13], 2
	s_wait_kmcnt 0x0
	s_mul_u64 s[6:7], s[6:7], s[46:47]
	s_lshl_b64 s[6:7], s[6:7], 2
	s_delay_alu instid0(SALU_CYCLE_1) | instskip(NEXT) | instid1(SALU_CYCLE_1)
	s_add_nc_u64 s[6:7], s[18:19], s[6:7]
	s_add_nc_u64 s[36:37], s[6:7], s[12:13]
.LBB7_7:
	s_load_b128 s[24:27], s[0:1], 0x90
	s_bfe_u32 s3, ttmp6, 0x40010
	s_and_b32 s6, ttmp7, 0xffff
	s_add_co_i32 s3, s3, 1
	s_bfe_u32 s7, ttmp6, 0x40004
	s_mul_i32 s3, s6, s3
	s_delay_alu instid0(SALU_CYCLE_1)
	s_add_co_i32 s7, s7, s3
	s_cmp_eq_u32 s2, 0
	s_mul_u64 s[2:3], s[4:5], s[46:47]
	s_cselect_b32 s8, s6, s7
	s_lshl_b64 s[2:3], s[2:3], 2
	s_wait_kmcnt 0x0
	s_add_nc_u64 s[26:27], s[26:27], s[2:3]
	s_load_b32 s2, s[26:27], 0x8
	s_wait_kmcnt 0x0
	s_cvt_i32_f32 s10, s2
	s_delay_alu instid0(SALU_CYCLE_3)
	s_cmp_ge_i32 s8, s10
	s_cbranch_scc1 .LBB7_171
; %bb.8:
	s_clause 0x1
	s_load_b128 s[20:23], s[0:1], 0x0
	s_load_b256 s[12:19], s[0:1], 0x10
                                        ; implicit-def: $vgpr23 : SGPR spill to VGPR lane
	s_add_nc_u64 s[38:39], s[0:1], 0xb8
	s_clause 0x3
	s_load_b64 s[40:41], s[0:1], 0x78
	s_load_b64 s[42:43], s[0:1], 0x84
	s_load_b32 s33, s[0:1], 0xa0
	s_load_b32 s34, s[0:1], 0xbc
	v_dual_mov_b32 v3, 0 :: v_dual_lshlrev_b32 v2, 2, v0
	v_mul_lo_u32 v1, v0, s11
	v_mul_lo_u32 v20, v0, s35
	v_cmp_gt_u32_e64 s2, 0x80, v0
	v_cmp_gt_u32_e64 s3, 64, v0
	;; [unrolled: 1-line block ×3, first 2 shown]
	v_cmp_eq_u32_e64 s5, 0, v0
	v_mov_b32_e32 v21, 1
	s_add_nc_u64 s[44:45], s[26:27], 12
	s_add_nc_u64 s[52:53], s[26:27], 16
	s_wait_kmcnt 0x0
	s_mul_i32 s6, s46, s20
	s_mul_u64 s[18:19], s[18:19], s[46:47]
	s_mul_u64 s[0:1], s[14:15], s[46:47]
	v_writelane_b32 v23, s18, 0
	s_lshl_b64 s[14:15], s[0:1], 2
	v_cmp_gt_i32_e64 s0, s21, v0
	s_lshl_b32 s6, s6, 1
	s_add_nc_u64 s[12:13], s[12:13], s[14:15]
	v_writelane_b32 v23, s19, 1
	s_ashr_i32 s7, s6, 31
	s_lshl_b64 s[18:19], s[18:19], 2
	s_lshl_b64 s[48:49], s[6:7], 2
	s_cmp_lg_u32 s21, 0
	v_writelane_b32 v23, s0, 2
	v_cmp_gt_i32_e64 s0, s22, v0
	s_cselect_b32 s20, -1, 0
	s_or_b32 s1, s23, s22
	v_add_nc_u64_e32 v[4:5], s[12:13], v[2:3]
	s_cmp_eq_u32 s1, 0
	v_writelane_b32 v23, s0, 3
	v_cmp_gt_i32_e64 s0, s23, v0
	s_cselect_b32 s104, -1, 0
	s_cmp_lg_u64 s[30:31], 0
	s_add_nc_u64 s[24:25], s[24:25], s[48:49]
	s_cselect_b32 s7, -1, 0
	v_writelane_b32 v23, s0, 4
	s_add_nc_u64 s[0:1], s[16:17], -4
	s_add_nc_u64 s[16:17], s[16:17], s[18:19]
	s_and_b32 vcc_hi, s20, s7
	s_cmp_lg_u64 s[28:29], 0
	v_writelane_b32 v23, s0, 5
	s_cselect_b32 s7, -1, 0
	s_cmp_lg_u32 s22, 0
	v_add_nc_u64_e32 v[6:7], s[16:17], v[2:3]
	s_cselect_b32 s14, -1, 0
	v_writelane_b32 v23, s1, 6
	s_add_nc_u64 s[0:1], s[16:17], -4
	s_and_b32 s46, s14, s7
	s_cmp_lg_u64 s[36:37], 0
	v_writelane_b32 v23, s0, 7
	s_cselect_b32 s7, -1, 0
	s_cmp_lg_u32 s23, 0
	s_cselect_b32 s14, -1, 0
	v_writelane_b32 v23, s1, 8
	s_add_nc_u64 s[0:1], s[12:13], -4
	s_and_b32 s47, s14, s7
	v_writelane_b32 v23, s0, 9
	v_writelane_b32 v23, s1, 10
	s_add_nc_u64 s[0:1], s[26:27], 20
	s_delay_alu instid0(SALU_CYCLE_1)
	v_writelane_b32 v23, s0, 11
	v_writelane_b32 v23, s1, 12
	s_branch .LBB7_11
.LBB7_9:                                ;   in Loop: Header=BB7_11 Depth=1
	s_or_b32 exec_lo, exec_lo, s7
.LBB7_10:                               ;   in Loop: Header=BB7_11 Depth=1
	s_add_co_i32 s8, s34, s8
	s_delay_alu instid0(SALU_CYCLE_1)
	s_cmp_lt_i32 s8, s10
	s_cbranch_scc0 .LBB7_171
.LBB7_11:                               ; =>This Loop Header: Depth=1
                                        ;     Child Loop BB7_15 Depth 2
                                        ;     Child Loop BB7_40 Depth 2
	;; [unrolled: 1-line block ×5, first 2 shown]
                                        ;       Child Loop BB7_155 Depth 3
                                        ;     Child Loop BB7_160 Depth 2
                                        ;       Child Loop BB7_161 Depth 3
                                        ;     Child Loop BB7_166 Depth 2
                                        ;       Child Loop BB7_167 Depth 3
	s_lshl_b32 s14, s8, 2
	s_delay_alu instid0(SALU_CYCLE_1) | instskip(NEXT) | instid1(SALU_CYCLE_1)
	s_ashr_i32 s15, s14, 31
	s_lshl_b64 s[14:15], s[14:15], 2
	s_wait_xcnt 0x0
	s_add_nc_u64 s[64:65], s[24:25], s[14:15]
	global_load_b64 v[8:9], v3, s[64:65] offset:4
	s_wait_loadcnt 0x0
	v_readfirstlane_b32 s56, v9
	v_readfirstlane_b32 s58, v8
	s_cmp_le_i32 s56, s58
	s_cbranch_scc1 .LBB7_10
; %bb.12:                               ;   in Loop: Header=BB7_11 Depth=1
	global_load_b32 v8, v3, s[64:65] offset:12
	s_wait_loadcnt 0x0
	v_cmp_le_i32_e32 vcc_lo, s40, v8
	s_cbranch_vccnz .LBB7_10
; %bb.13:                               ;   in Loop: Header=BB7_11 Depth=1
	v_mov_b32_e32 v10, 0
	s_sub_co_i32 s54, s56, s58
	s_ashr_i32 s59, s58, 31
	s_mov_b32 s7, exec_lo
	s_wait_xcnt 0x0
	v_cmpx_ge_i32_e64 s54, v0
	s_cbranch_execz .LBB7_17
; %bb.14:                               ;   in Loop: Header=BB7_11 Depth=1
	v_lshl_add_u64 v[8:9], s[58:59], 2, v[4:5]
	v_dual_mov_b32 v10, 0 :: v_dual_mov_b32 v11, v0
	s_mov_b32 s14, 0
.LBB7_15:                               ;   Parent Loop BB7_11 Depth=1
                                        ; =>  This Inner Loop Header: Depth=2
	global_load_b32 v12, v[8:9], off
	v_add_nc_u32_e32 v11, 0x100, v11
	s_wait_xcnt 0x0
	v_add_nc_u64_e32 v[8:9], 0x400, v[8:9]
	s_delay_alu instid0(VALU_DEP_2) | instskip(SKIP_3) | instid1(VALU_DEP_1)
	v_cmp_lt_i32_e32 vcc_lo, s54, v11
	s_or_b32 s14, vcc_lo, s14
	s_wait_loadcnt 0x0
	v_cmp_lt_f32_e64 s15, v10, |v12|
	v_cndmask_b32_e64 v10, v10, |v12|, s15
	s_and_not1_b32 exec_lo, exec_lo, s14
	s_cbranch_execnz .LBB7_15
; %bb.16:                               ;   in Loop: Header=BB7_11 Depth=1
	s_or_b32 exec_lo, exec_lo, s14
.LBB7_17:                               ;   in Loop: Header=BB7_11 Depth=1
	s_delay_alu instid0(SALU_CYCLE_1)
	s_or_b32 exec_lo, exec_lo, s7
	ds_store_b32 v2, v10
	s_wait_dscnt 0x0
	s_barrier_signal -1
	s_barrier_wait -1
	s_and_saveexec_b32 s7, s2
	s_cbranch_execz .LBB7_21
; %bb.18:                               ;   in Loop: Header=BB7_11 Depth=1
	ds_load_b32 v8, v2 offset:512
	s_mov_b32 s14, exec_lo
	s_wait_dscnt 0x0
	v_cmpx_lt_f32_e32 v10, v8
; %bb.19:                               ;   in Loop: Header=BB7_11 Depth=1
	v_mov_b32_e32 v10, v8
	ds_store_b32 v2, v8
; %bb.20:                               ;   in Loop: Header=BB7_11 Depth=1
	s_or_b32 exec_lo, exec_lo, s14
.LBB7_21:                               ;   in Loop: Header=BB7_11 Depth=1
	s_delay_alu instid0(SALU_CYCLE_1)
	s_or_b32 exec_lo, exec_lo, s7
	s_wait_dscnt 0x0
	s_barrier_signal -1
	s_barrier_wait -1
	s_and_saveexec_b32 s7, s3
	s_cbranch_execz .LBB7_25
; %bb.22:                               ;   in Loop: Header=BB7_11 Depth=1
	ds_load_b32 v8, v2 offset:256
	s_mov_b32 s14, exec_lo
	s_wait_dscnt 0x0
	v_cmpx_lt_f32_e32 v10, v8
; %bb.23:                               ;   in Loop: Header=BB7_11 Depth=1
	v_mov_b32_e32 v10, v8
	ds_store_b32 v2, v8
; %bb.24:                               ;   in Loop: Header=BB7_11 Depth=1
	s_or_b32 exec_lo, exec_lo, s14
.LBB7_25:                               ;   in Loop: Header=BB7_11 Depth=1
	s_delay_alu instid0(SALU_CYCLE_1)
	s_or_b32 exec_lo, exec_lo, s7
	s_wait_dscnt 0x0
	s_barrier_signal -1
	s_barrier_wait -1
	s_and_saveexec_b32 s7, s4
	s_cbranch_execz .LBB7_38
; %bb.26:                               ;   in Loop: Header=BB7_11 Depth=1
	ds_load_b32 v8, v2 offset:128
	s_mov_b32 s14, exec_lo
	s_wait_dscnt 0x0
	v_cmpx_lt_f32_e32 v10, v8
; %bb.27:                               ;   in Loop: Header=BB7_11 Depth=1
	v_mov_b32_e32 v10, v8
	ds_store_b32 v2, v8
; %bb.28:                               ;   in Loop: Header=BB7_11 Depth=1
	s_or_b32 exec_lo, exec_lo, s14
	ds_load_b32 v8, v2 offset:64
	s_mov_b32 s14, exec_lo
	s_wait_dscnt 0x0
	v_cmpx_lt_f32_e32 v10, v8
; %bb.29:                               ;   in Loop: Header=BB7_11 Depth=1
	v_mov_b32_e32 v10, v8
	ds_store_b32 v2, v8
; %bb.30:                               ;   in Loop: Header=BB7_11 Depth=1
	s_or_b32 exec_lo, exec_lo, s14
	;; [unrolled: 9-line block ×5, first 2 shown]
	ds_load_b32 v8, v2 offset:4
	s_wait_dscnt 0x0
	v_cmp_lt_f32_e32 vcc_lo, v10, v8
	s_and_b32 exec_lo, exec_lo, vcc_lo
; %bb.37:                               ;   in Loop: Header=BB7_11 Depth=1
	ds_store_b32 v2, v8
.LBB7_38:                               ;   in Loop: Header=BB7_11 Depth=1
	s_or_b32 exec_lo, exec_lo, s7
	v_mov_b32_e32 v10, 0
	s_mov_b32 s7, exec_lo
	s_wait_dscnt 0x0
	s_barrier_signal -1
	s_barrier_wait -1
	v_cmpx_gt_i32_e64 s54, v0
	s_cbranch_execz .LBB7_42
; %bb.39:                               ;   in Loop: Header=BB7_11 Depth=1
	v_lshl_add_u64 v[8:9], s[58:59], 2, v[6:7]
	v_dual_mov_b32 v10, 0 :: v_dual_mov_b32 v11, v0
	s_mov_b32 s14, 0
.LBB7_40:                               ;   Parent Loop BB7_11 Depth=1
                                        ; =>  This Inner Loop Header: Depth=2
	global_load_b32 v12, v[8:9], off
	v_add_nc_u32_e32 v11, 0x100, v11
	s_wait_xcnt 0x0
	v_add_nc_u64_e32 v[8:9], 0x400, v[8:9]
	s_delay_alu instid0(VALU_DEP_2) | instskip(SKIP_3) | instid1(VALU_DEP_1)
	v_cmp_le_i32_e32 vcc_lo, s54, v11
	s_or_b32 s14, vcc_lo, s14
	s_wait_loadcnt 0x0
	v_cmp_lt_f32_e64 s15, v10, |v12|
	v_cndmask_b32_e64 v10, v10, |v12|, s15
	s_and_not1_b32 exec_lo, exec_lo, s14
	s_cbranch_execnz .LBB7_40
; %bb.41:                               ;   in Loop: Header=BB7_11 Depth=1
	s_or_b32 exec_lo, exec_lo, s14
.LBB7_42:                               ;   in Loop: Header=BB7_11 Depth=1
	s_delay_alu instid0(SALU_CYCLE_1)
	s_or_b32 exec_lo, exec_lo, s7
	s_cmp_lt_i32 s54, 2
	ds_store_b32 v2, v10 offset:4
	s_wait_dscnt 0x0
	s_barrier_signal -1
	s_barrier_wait -1
	s_cbranch_scc1 .LBB7_65
; %bb.43:                               ;   in Loop: Header=BB7_11 Depth=1
	s_and_saveexec_b32 s7, s2
	s_cbranch_execz .LBB7_47
; %bb.44:                               ;   in Loop: Header=BB7_11 Depth=1
	ds_load_b32 v8, v2 offset:516
	s_mov_b32 s14, exec_lo
	s_wait_dscnt 0x0
	v_cmpx_lt_f32_e32 v10, v8
; %bb.45:                               ;   in Loop: Header=BB7_11 Depth=1
	v_mov_b32_e32 v10, v8
	ds_store_b32 v2, v8 offset:4
; %bb.46:                               ;   in Loop: Header=BB7_11 Depth=1
	s_or_b32 exec_lo, exec_lo, s14
.LBB7_47:                               ;   in Loop: Header=BB7_11 Depth=1
	s_delay_alu instid0(SALU_CYCLE_1)
	s_or_b32 exec_lo, exec_lo, s7
	s_wait_dscnt 0x0
	s_barrier_signal -1
	s_barrier_wait -1
	s_and_saveexec_b32 s7, s3
	s_cbranch_execz .LBB7_51
; %bb.48:                               ;   in Loop: Header=BB7_11 Depth=1
	ds_load_b32 v8, v2 offset:260
	s_mov_b32 s14, exec_lo
	s_wait_dscnt 0x0
	v_cmpx_lt_f32_e32 v10, v8
; %bb.49:                               ;   in Loop: Header=BB7_11 Depth=1
	v_mov_b32_e32 v10, v8
	ds_store_b32 v2, v8 offset:4
; %bb.50:                               ;   in Loop: Header=BB7_11 Depth=1
	s_or_b32 exec_lo, exec_lo, s14
.LBB7_51:                               ;   in Loop: Header=BB7_11 Depth=1
	s_delay_alu instid0(SALU_CYCLE_1)
	s_or_b32 exec_lo, exec_lo, s7
	s_wait_dscnt 0x0
	s_barrier_signal -1
	s_barrier_wait -1
	s_and_saveexec_b32 s7, s4
	s_cbranch_execz .LBB7_64
; %bb.52:                               ;   in Loop: Header=BB7_11 Depth=1
	ds_load_b32 v8, v2 offset:132
	s_mov_b32 s14, exec_lo
	s_wait_dscnt 0x0
	v_cmpx_lt_f32_e32 v10, v8
; %bb.53:                               ;   in Loop: Header=BB7_11 Depth=1
	v_mov_b32_e32 v10, v8
	ds_store_b32 v2, v8 offset:4
; %bb.54:                               ;   in Loop: Header=BB7_11 Depth=1
	s_or_b32 exec_lo, exec_lo, s14
	ds_load_b32 v8, v2 offset:68
	s_mov_b32 s14, exec_lo
	s_wait_dscnt 0x0
	v_cmpx_lt_f32_e32 v10, v8
; %bb.55:                               ;   in Loop: Header=BB7_11 Depth=1
	v_mov_b32_e32 v10, v8
	ds_store_b32 v2, v8 offset:4
; %bb.56:                               ;   in Loop: Header=BB7_11 Depth=1
	s_or_b32 exec_lo, exec_lo, s14
	;; [unrolled: 9-line block ×5, first 2 shown]
	ds_load_b32 v8, v2 offset:8
	s_wait_dscnt 0x0
	v_cmp_lt_f32_e32 vcc_lo, v10, v8
	s_and_b32 exec_lo, exec_lo, vcc_lo
; %bb.63:                               ;   in Loop: Header=BB7_11 Depth=1
	ds_store_b32 v2, v8 offset:4
.LBB7_64:                               ;   in Loop: Header=BB7_11 Depth=1
	s_or_b32 exec_lo, exec_lo, s7
.LBB7_65:                               ;   in Loop: Header=BB7_11 Depth=1
	s_lshl_b64 s[60:61], s[58:59], 2
	s_wait_dscnt 0x0
	s_add_nc_u64 s[68:69], s[16:17], s[60:61]
	s_add_nc_u64 s[76:77], s[12:13], s[60:61]
	s_barrier_signal -1
	s_barrier_wait -1
	s_and_saveexec_b32 s7, s5
	s_cbranch_execz .LBB7_79
; %bb.66:                               ;   in Loop: Header=BB7_11 Depth=1
	v_mov_b32_e32 v8, s56
	s_clause 0x1
	global_load_b32 v9, v3, s[76:77]
	global_load_b32 v8, v8, s[12:13] scale_offset
	s_wait_loadcnt 0x1
	v_readfirstlane_b32 s14, v9
	s_wait_loadcnt 0x0
	v_readfirstlane_b32 s15, v8
	s_bitset0_b32 s14, 31
	s_bitset0_b32 s15, 31
	s_delay_alu instid0(SALU_CYCLE_1)
	s_cmp_ge_f32 s14, s15
	s_cselect_b32 s48, -1, 0
	s_ashr_i32 s55, s54, 31
	s_wait_xcnt 0x0
	v_cndmask_b32_e64 v8, 0, 1, s48
	s_lshl_b64 s[18:19], s[54:55], 2
	s_and_b32 s49, s48, exec_lo
	s_add_nc_u64 s[18:19], s[76:77], s[18:19]
	s_mov_b32 s55, 0
	s_cselect_b32 s19, s77, s19
	s_cselect_b32 s18, s76, s18
	s_not_b32 s49, s58
	global_load_b32 v9, v3, s[18:19]
	s_add_co_i32 s49, s49, s56
	ds_store_b32 v3, v8 offset:1028
	s_wait_loadcnt 0x0
	s_wait_xcnt 0x0
	v_readfirstlane_b32 s18, v9
	s_and_b32 s19, s18, 0x7fffffff
	s_delay_alu instid0(SALU_CYCLE_1)
	s_mov_b32 s57, s19
	s_branch .LBB7_68
.LBB7_67:                               ;   in Loop: Header=BB7_68 Depth=2
	s_and_not1_b32 vcc_lo, exec_lo, s63
	s_cbranch_vccz .LBB7_70
.LBB7_68:                               ;   Parent Loop BB7_11 Depth=1
                                        ; =>  This Inner Loop Header: Depth=2
	s_and_b32 s18, s48, exec_lo
	s_cselect_b32 s18, s55, s49
	s_mul_f32 s62, s42, s57
	v_mov_b32_e32 v8, s18
	s_mov_b32 s63, -1
	global_load_b32 v8, v8, s[68:69] scale_offset
	s_wait_loadcnt 0x0
	s_wait_xcnt 0x0
	v_and_b32_e32 v8, 0x7fffffff, v8
	s_delay_alu instid0(VALU_DEP_1)
	v_cmp_nge_f32_e32 vcc_lo, s62, v8
	s_mov_b32 s62, -1
	s_cbranch_vccz .LBB7_67
; %bb.69:                               ;   in Loop: Header=BB7_68 Depth=2
	s_add_co_i32 s55, s55, 1
	s_and_b32 s62, s48, exec_lo
	s_cselect_b32 s62, s55, s49
	s_delay_alu instid0(SALU_CYCLE_1) | instskip(NEXT) | instid1(VALU_DEP_1)
	v_dual_add_f32 v8, s57, v8 :: v_dual_mov_b32 v9, s62
	v_div_scale_f32 v10, null, v8, v8, s57
	global_load_b32 v9, v9, s[76:77] scale_offset
	v_div_scale_f32 v13, vcc_lo, s57, v8, s57
	v_rcp_f32_e32 v11, v10
	v_nop
	v_xor_b32_e32 v10, 0x80000000, v10
	s_delay_alu instid0(TRANS32_DEP_1) | instid1(VALU_DEP_1)
	v_fma_f32 v12, v10, v11, 1.0
	s_delay_alu instid0(VALU_DEP_1) | instskip(NEXT) | instid1(VALU_DEP_1)
	v_fmac_f32_e32 v11, v12, v11
	v_mul_f32_e32 v12, v13, v11
	s_delay_alu instid0(VALU_DEP_1) | instskip(NEXT) | instid1(VALU_DEP_1)
	v_fma_f32 v14, v10, v12, v13
	v_fmac_f32_e32 v12, v14, v11
	s_delay_alu instid0(VALU_DEP_1) | instskip(NEXT) | instid1(VALU_DEP_1)
	v_fmac_f32_e32 v13, v10, v12
	v_div_fmas_f32 v10, v13, v11, v12
	s_delay_alu instid0(VALU_DEP_1) | instskip(NEXT) | instid1(VALU_DEP_1)
	v_div_fixup_f32 v8, v10, v8, s57
	v_readfirstlane_b32 s62, v8
	s_wait_loadcnt 0x0
	v_readfirstlane_b32 s57, v9
	s_bitset0_b32 s57, 31
	s_delay_alu instid0(SALU_CYCLE_1) | instskip(SKIP_1) | instid1(SALU_CYCLE_2)
	s_mul_f32 s57, s62, s57
	s_mov_b32 s62, 0
	s_cmp_lt_f32 s57, s19
	s_cselect_b32 s19, s57, s19
	s_add_co_i32 s49, s49, -1
	s_delay_alu instid0(SALU_CYCLE_1)
	s_cmp_eq_u32 s49, -1
	s_cselect_b32 s63, -1, 0
	s_branch .LBB7_67
.LBB7_70:                               ;   in Loop: Header=BB7_11 Depth=1
	s_and_b32 vcc_lo, exec_lo, s62
	s_cbranch_vccz .LBB7_72
; %bb.71:                               ;   in Loop: Header=BB7_11 Depth=1
	s_ashr_i32 s19, s18, 31
	s_delay_alu instid0(SALU_CYCLE_1) | instskip(NEXT) | instid1(SALU_CYCLE_1)
	s_lshl_b64 s[18:19], s[18:19], 2
	s_add_nc_u64 s[62:63], s[68:69], s[18:19]
	s_mov_b32 s19, -1.0
	global_store_b32 v3, v3, s[62:63]
.LBB7_72:                               ;   in Loop: Header=BB7_11 Depth=1
	v_mov_b32_e32 v8, s19
	s_cmp_nge_f32 s19, 0
	ds_store_b32 v3, v8 offset:1032
	ds_store_b8 v3, v3 offset:1036
	s_cbranch_scc1 .LBB7_79
; %bb.73:                               ;   in Loop: Header=BB7_11 Depth=1
	s_wait_xcnt 0x0
	ds_load_b64 v[8:9], v3
	s_mov_b32 s18, -1
	s_wait_dscnt 0x0
	v_cmp_lt_f32_e32 vcc_lo, v8, v9
	v_cndmask_b32_e32 v8, v8, v9, vcc_lo
	s_delay_alu instid0(VALU_DEP_1) | instskip(NEXT) | instid1(VALU_DEP_1)
	v_div_scale_f32 v9, null, v8, v8, s19
	v_rcp_f32_e32 v10, v9
	v_nop
	v_xor_b32_e32 v9, 0x80000000, v9
	s_delay_alu instid0(TRANS32_DEP_1) | instid1(VALU_DEP_1)
	v_fma_f32 v11, v9, v10, 1.0
	s_delay_alu instid0(VALU_DEP_1) | instskip(SKIP_1) | instid1(VALU_DEP_1)
	v_fmac_f32_e32 v10, v11, v10
	v_div_scale_f32 v11, vcc_lo, s19, v8, s19
	v_mul_f32_e32 v12, v11, v10
	s_delay_alu instid0(VALU_DEP_1) | instskip(NEXT) | instid1(VALU_DEP_1)
	v_fma_f32 v13, v9, v12, v11
	v_fmac_f32_e32 v12, v13, v10
	s_delay_alu instid0(VALU_DEP_1) | instskip(NEXT) | instid1(VALU_DEP_1)
	v_fmac_f32_e32 v11, v9, v12
	v_div_fmas_f32 v9, v11, v10, v12
	s_delay_alu instid0(VALU_DEP_1) | instskip(NEXT) | instid1(VALU_DEP_1)
	v_div_fixup_f32 v8, v9, v8, s19
	v_cmp_ge_f32_e32 vcc_lo, s43, v8
	s_cbranch_vccnz .LBB7_76
; %bb.74:                               ;   in Loop: Header=BB7_11 Depth=1
	s_and_b32 s18, s48, exec_lo
	s_cselect_b32 s14, s14, s15
	s_mov_b32 s18, 0
	s_cmp_gt_f32 s14, 0
	s_cbranch_scc0 .LBB7_76
; %bb.75:                               ;   in Loop: Header=BB7_11 Depth=1
	s_mul_f32 s15, s19, s19
	s_delay_alu instid0(SALU_CYCLE_3) | instskip(SKIP_1) | instid1(VALU_DEP_2)
	v_div_scale_f32 v8, null, s14, s14, s15
	v_div_scale_f32 v11, vcc_lo, s15, s14, s15
	v_rcp_f32_e32 v9, v8
	v_nop
	v_xor_b32_e32 v8, 0x80000000, v8
	s_delay_alu instid0(TRANS32_DEP_1) | instid1(VALU_DEP_1)
	v_fma_f32 v10, v8, v9, 1.0
	s_delay_alu instid0(VALU_DEP_1) | instskip(NEXT) | instid1(VALU_DEP_1)
	v_fmac_f32_e32 v9, v10, v9
	v_mul_f32_e32 v10, v11, v9
	s_delay_alu instid0(VALU_DEP_1) | instskip(NEXT) | instid1(VALU_DEP_1)
	v_fma_f32 v12, v8, v10, v11
	v_fmac_f32_e32 v10, v12, v9
	s_delay_alu instid0(VALU_DEP_1) | instskip(NEXT) | instid1(VALU_DEP_1)
	v_fmac_f32_e32 v11, v8, v10
	v_div_fmas_f32 v8, v11, v9, v10
	s_delay_alu instid0(VALU_DEP_1) | instskip(NEXT) | instid1(VALU_DEP_1)
	v_div_fixup_f32 v8, v8, s14, s15
	v_div_scale_f32 v9, null, s14, s14, v8
	s_delay_alu instid0(VALU_DEP_1)
	v_rcp_f32_e32 v10, v9
	v_nop
	v_xor_b32_e32 v9, 0x80000000, v9
	s_delay_alu instid0(TRANS32_DEP_1) | instid1(VALU_DEP_1)
	v_fma_f32 v11, v9, v10, 1.0
	s_delay_alu instid0(VALU_DEP_1) | instskip(SKIP_1) | instid1(VALU_DEP_1)
	v_fmac_f32_e32 v10, v11, v10
	v_div_scale_f32 v11, vcc_lo, v8, s14, v8
	v_mul_f32_e32 v12, v11, v10
	s_delay_alu instid0(VALU_DEP_1) | instskip(NEXT) | instid1(VALU_DEP_1)
	v_fma_f32 v13, v9, v12, v11
	v_fmac_f32_e32 v12, v13, v10
	s_delay_alu instid0(VALU_DEP_1) | instskip(NEXT) | instid1(VALU_DEP_1)
	v_fmac_f32_e32 v11, v9, v12
	v_div_fmas_f32 v9, v11, v10, v12
	s_delay_alu instid0(VALU_DEP_1) | instskip(NEXT) | instid1(VALU_DEP_1)
	v_div_fixup_f32 v8, v9, s14, v8
	v_cmp_gt_f32_e64 s18, s41, v8
.LBB7_76:                               ;   in Loop: Header=BB7_11 Depth=1
	s_delay_alu instid0(VALU_DEP_1)
	s_and_b32 vcc_lo, exec_lo, s18
	s_cbranch_vccz .LBB7_78
; %bb.77:                               ;   in Loop: Header=BB7_11 Depth=1
	ds_store_b32 v3, v3 offset:1032
.LBB7_78:                               ;   in Loop: Header=BB7_11 Depth=1
	ds_store_b8 v3, v21 offset:1036
.LBB7_79:                               ;   in Loop: Header=BB7_11 Depth=1
	s_wait_xcnt 0x0
	s_or_b32 exec_lo, exec_lo, s7
	s_wait_storecnt_dscnt 0x0
	s_barrier_signal -1
	s_barrier_wait -1
	ds_load_u8 v8, v3 offset:1036
	s_mov_b32 s7, -1
	s_wait_dscnt 0x0
	v_cmp_eq_u32_e32 vcc_lo, 0, v8
	s_cbranch_vccz .LBB7_83
; %bb.80:                               ;   in Loop: Header=BB7_11 Depth=1
	s_and_saveexec_b32 s7, s5
	s_cbranch_execz .LBB7_82
; %bb.81:                               ;   in Loop: Header=BB7_11 Depth=1
	global_store_b32 v3, v3, s[64:65]
.LBB7_82:                               ;   in Loop: Header=BB7_11 Depth=1
	s_wait_xcnt 0x0
	s_or_b32 exec_lo, exec_lo, s7
	s_mov_b32 s7, 0
.LBB7_83:                               ;   in Loop: Header=BB7_11 Depth=1
	s_delay_alu instid0(SALU_CYCLE_1)
	s_and_not1_b32 vcc_lo, exec_lo, s7
	s_cbranch_vccnz .LBB7_10
; %bb.84:                               ;   in Loop: Header=BB7_11 Depth=1
	ds_load_b32 v8, v3 offset:1028
	s_wait_dscnt 0x0
	v_readfirstlane_b32 s62, v8
	s_and_saveexec_b32 s7, s5
	s_cbranch_execz .LBB7_86
; %bb.85:                               ;   in Loop: Header=BB7_11 Depth=1
	s_cmp_eq_u32 s62, 0
	s_cselect_b32 s14, -1, 1
	s_delay_alu instid0(SALU_CYCLE_1)
	v_mov_b32_e32 v8, s14
	global_store_b32 v3, v8, s[64:65]
.LBB7_86:                               ;   in Loop: Header=BB7_11 Depth=1
	s_wait_xcnt 0x0
	s_or_b32 exec_lo, exec_lo, s7
	s_add_co_i32 s72, s54, 1
	s_mul_i32 s64, s58, s33
	s_sub_co_i32 s70, 1, s62
	s_ashr_i32 s65, s64, 31
	s_sub_co_i32 s55, s62, s70
	s_lshl_b32 s7, s72, 1
	s_and_b32 s14, s20, exec_lo
	s_cselect_b32 s66, s7, 0
	s_and_saveexec_b32 s57, s5
	s_cbranch_execz .LBB7_149
; %bb.87:                               ;   in Loop: Header=BB7_11 Depth=1
	s_cmp_lg_u32 s62, 0
	v_mov_b32_e32 v10, 0
	s_cselect_b32 s48, -1, 0
	v_mov_b32_e32 v13, 0
	s_and_b32 s7, s48, exec_lo
	s_cselect_b32 s74, 0, s54
	s_delay_alu instid0(SALU_CYCLE_1)
	v_mov_b32_e32 v8, s74
	global_load_b32 v9, v8, s[76:77] scale_offset
	s_wait_loadcnt 0x0
	v_cmp_eq_f32_e32 vcc_lo, 0, v9
	s_cbranch_vccnz .LBB7_89
; %bb.88:                               ;   in Loop: Header=BB7_11 Depth=1
	s_wait_xcnt 0x0
	ds_load_b32 v8, v3 offset:1032
	v_cmp_lt_f32_e64 s7, 0, v9
	s_wait_dscnt 0x0
	v_div_scale_f32 v10, null, v9, v9, v8
	v_div_scale_f32 v14, vcc_lo, v8, v9, v8
	s_delay_alu instid0(VALU_DEP_2)
	v_rcp_f32_e32 v11, v10
	v_nop
	v_xor_b32_e32 v10, 0x80000000, v10
	s_delay_alu instid0(TRANS32_DEP_1) | instid1(VALU_DEP_1)
	v_fma_f32 v12, v10, v11, 1.0
	s_delay_alu instid0(VALU_DEP_1) | instskip(NEXT) | instid1(VALU_DEP_1)
	v_fmac_f32_e32 v11, v12, v11
	v_mul_f32_e32 v12, v14, v11
	s_delay_alu instid0(VALU_DEP_1) | instskip(NEXT) | instid1(VALU_DEP_1)
	v_fma_f32 v15, v10, v12, v14
	v_fmac_f32_e32 v12, v15, v11
	v_cndmask_b32_e64 v15, 0, 1, s7
	v_cmp_gt_f32_e64 s7, 0, v9
	s_delay_alu instid0(VALU_DEP_3) | instskip(NEXT) | instid1(VALU_DEP_2)
	v_fmac_f32_e32 v14, v10, v12
	v_subrev_co_ci_u32_e64 v10, null, 0, v15, s7
	s_delay_alu instid0(VALU_DEP_2) | instskip(SKIP_1) | instid1(VALU_DEP_3)
	v_div_fmas_f32 v11, v14, v11, v12
	v_and_b32_e32 v12, 0x7fffffff, v9
	v_cvt_f32_i32_e32 v10, v10
	s_delay_alu instid0(VALU_DEP_3) | instskip(NEXT) | instid1(VALU_DEP_1)
	v_div_fixup_f32 v11, v11, v9, v8
	v_dual_sub_f32 v8, v12, v8 :: v_dual_add_f32 v10, v11, v10
	s_delay_alu instid0(VALU_DEP_1)
	v_mul_f32_e32 v10, v8, v10
.LBB7_89:                               ;   in Loop: Header=BB7_11 Depth=1
	s_ashr_i32 s75, s74, 31
	s_ashr_i32 s63, s62, 31
	s_delay_alu instid0(SALU_CYCLE_1) | instskip(NEXT) | instid1(SALU_CYCLE_1)
	s_add_nc_u64 s[78:79], s[74:75], s[62:63]
	s_lshl_b64 s[18:19], s[78:79], 2
	s_delay_alu instid0(SALU_CYCLE_1)
	s_add_nc_u64 s[80:81], s[68:69], s[18:19]
	global_load_b32 v8, v3, s[80:81] offset:-4
	s_wait_loadcnt 0x0
	v_cmp_eq_f32_e32 vcc_lo, 0, v8
	s_cbranch_vccnz .LBB7_93
; %bb.90:                               ;   in Loop: Header=BB7_11 Depth=1
	v_cmp_eq_f32_e32 vcc_lo, 0, v10
	s_cbranch_vccnz .LBB7_94
; %bb.91:                               ;   in Loop: Header=BB7_11 Depth=1
	v_and_b32_e32 v11, 0x7fffffff, v8
	v_and_b32_e32 v12, 0x7fffffff, v10
	s_delay_alu instid0(VALU_DEP_1)
	v_cmp_gt_f32_e32 vcc_lo, v11, v12
	s_cbranch_vccnz .LBB7_95
; %bb.92:                               ;   in Loop: Header=BB7_11 Depth=1
	v_div_scale_f32 v11, null, v10, v10, -v8
	v_div_scale_f32 v14, vcc_lo, -v8, v10, -v8
	s_delay_alu instid0(VALU_DEP_2)
	v_rcp_f32_e32 v12, v11
	v_nop
	v_xor_b32_e32 v11, 0x80000000, v11
	s_delay_alu instid0(TRANS32_DEP_1) | instid1(VALU_DEP_1)
	v_fma_f32 v13, v11, v12, 1.0
	s_delay_alu instid0(VALU_DEP_1) | instskip(NEXT) | instid1(VALU_DEP_1)
	v_fmac_f32_e32 v12, v13, v12
	v_mul_f32_e32 v13, v14, v12
	s_delay_alu instid0(VALU_DEP_1) | instskip(NEXT) | instid1(VALU_DEP_1)
	v_fma_f32 v15, v11, v13, v14
	v_fmac_f32_e32 v13, v15, v12
	s_delay_alu instid0(VALU_DEP_1) | instskip(NEXT) | instid1(VALU_DEP_1)
	v_fmac_f32_e32 v14, v11, v13
	v_div_fmas_f32 v11, v14, v12, v13
	s_delay_alu instid0(VALU_DEP_1) | instskip(NEXT) | instid1(VALU_DEP_1)
	v_div_fixup_f32 v11, v11, v10, -v8
	v_readfirstlane_b32 s7, v11
	s_fmaak_f32 s7, s7, s7, 0x3f800000
	s_delay_alu instid0(SALU_CYCLE_3) | instskip(SKIP_1) | instid1(SALU_CYCLE_2)
	s_mul_f32 s14, s7, 0x4f800000
	s_cmp_lt_f32 s7, 0xf800000
	s_cselect_b32 s14, s14, s7
	s_delay_alu instid0(SALU_CYCLE_1) | instskip(SKIP_1) | instid1(TRANS32_DEP_1)
	v_s_sqrt_f32 s15, s14
	s_mov_b32 s67, s14
	s_add_co_i32 s49, s15, -1
	s_delay_alu instid0(SALU_CYCLE_1) | instskip(NEXT) | instid1(SALU_CYCLE_1)
	s_xor_b32 s71, s49, 0x80000000
	s_fmac_f32 s67, s71, s15
	s_mov_b32 s71, s14
	s_delay_alu instid0(SALU_CYCLE_2) | instskip(SKIP_2) | instid1(SALU_CYCLE_1)
	s_cmp_le_f32 s67, 0
	s_cselect_b32 s49, s49, s15
	s_add_co_i32 s67, s15, 1
	s_xor_b32 s73, s67, 0x80000000
	s_delay_alu instid0(SALU_CYCLE_1) | instskip(SKIP_1) | instid1(SALU_CYCLE_2)
	s_fmac_f32 s71, s73, s15
	v_cmp_class_f32_e64 s15, s14, 0x260
	s_cmp_gt_f32 s71, 0
	s_cselect_b32 s49, s67, s49
	s_cmp_lt_f32 s7, 0xf800000
	s_mul_f32 s7, s49, 0x37800000
	s_delay_alu instid0(SALU_CYCLE_3) | instskip(SKIP_2) | instid1(SALU_CYCLE_1)
	s_cselect_b32 s7, s7, s49
	s_and_b32 s15, s15, exec_lo
	s_cselect_b32 s7, s14, s7
	v_div_scale_f32 v12, null, s7, s7, 1.0
	s_delay_alu instid0(VALU_DEP_1)
	v_rcp_f32_e32 v13, v12
	v_nop
	v_xor_b32_e32 v12, 0x80000000, v12
	s_delay_alu instid0(TRANS32_DEP_1) | instid1(VALU_DEP_1)
	v_fma_f32 v14, v12, v13, 1.0
	s_delay_alu instid0(VALU_DEP_1) | instskip(SKIP_1) | instid1(VALU_DEP_1)
	v_fmac_f32_e32 v13, v14, v13
	v_div_scale_f32 v14, vcc_lo, 1.0, s7, 1.0
	v_mul_f32_e32 v15, v14, v13
	s_delay_alu instid0(VALU_DEP_1) | instskip(NEXT) | instid1(VALU_DEP_1)
	v_fma_f32 v16, v12, v15, v14
	v_fmac_f32_e32 v15, v16, v13
	s_delay_alu instid0(VALU_DEP_1) | instskip(NEXT) | instid1(VALU_DEP_1)
	v_fmac_f32_e32 v14, v12, v15
	v_div_fmas_f32 v12, v14, v13, v15
	s_delay_alu instid0(VALU_DEP_1) | instskip(NEXT) | instid1(VALU_DEP_1)
	v_div_fixup_f32 v12, v12, s7, 1.0
	v_mul_f32_e32 v13, v11, v12
	s_cbranch_execz .LBB7_96
	s_branch .LBB7_97
.LBB7_93:                               ;   in Loop: Header=BB7_11 Depth=1
	v_mov_b32_e32 v12, 1.0
	s_branch .LBB7_97
.LBB7_94:                               ;   in Loop: Header=BB7_11 Depth=1
	v_dual_mov_b32 v13, 1.0 :: v_dual_mov_b32 v12, 0
	s_branch .LBB7_97
.LBB7_95:                               ;   in Loop: Header=BB7_11 Depth=1
                                        ; implicit-def: $vgpr13
.LBB7_96:                               ;   in Loop: Header=BB7_11 Depth=1
	v_div_scale_f32 v11, null, v8, v8, -v10
	v_div_scale_f32 v14, vcc_lo, -v10, v8, -v10
	s_delay_alu instid0(VALU_DEP_2)
	v_rcp_f32_e32 v12, v11
	v_nop
	v_xor_b32_e32 v11, 0x80000000, v11
	s_delay_alu instid0(TRANS32_DEP_1) | instid1(VALU_DEP_1)
	v_fma_f32 v13, v11, v12, 1.0
	s_delay_alu instid0(VALU_DEP_1) | instskip(NEXT) | instid1(VALU_DEP_1)
	v_fmac_f32_e32 v12, v13, v12
	v_mul_f32_e32 v13, v14, v12
	s_delay_alu instid0(VALU_DEP_1) | instskip(NEXT) | instid1(VALU_DEP_1)
	v_fma_f32 v15, v11, v13, v14
	v_fmac_f32_e32 v13, v15, v12
	s_delay_alu instid0(VALU_DEP_1) | instskip(NEXT) | instid1(VALU_DEP_1)
	v_fmac_f32_e32 v14, v11, v13
	v_div_fmas_f32 v11, v14, v12, v13
	s_delay_alu instid0(VALU_DEP_1) | instskip(NEXT) | instid1(VALU_DEP_1)
	v_div_fixup_f32 v10, v11, v8, -v10
	v_readfirstlane_b32 s7, v10
	s_fmaak_f32 s7, s7, s7, 0x3f800000
	s_delay_alu instid0(SALU_CYCLE_3) | instskip(SKIP_1) | instid1(SALU_CYCLE_2)
	s_mul_f32 s14, s7, 0x4f800000
	s_cmp_lt_f32 s7, 0xf800000
	s_cselect_b32 s14, s14, s7
	s_delay_alu instid0(SALU_CYCLE_1) | instskip(SKIP_1) | instid1(TRANS32_DEP_1)
	v_s_sqrt_f32 s15, s14
	s_mov_b32 s67, s14
	s_add_co_i32 s49, s15, -1
	s_delay_alu instid0(SALU_CYCLE_1) | instskip(NEXT) | instid1(SALU_CYCLE_1)
	s_xor_b32 s71, s49, 0x80000000
	s_fmac_f32 s67, s71, s15
	s_mov_b32 s71, s14
	s_delay_alu instid0(SALU_CYCLE_2) | instskip(SKIP_2) | instid1(SALU_CYCLE_1)
	s_cmp_le_f32 s67, 0
	s_cselect_b32 s49, s49, s15
	s_add_co_i32 s67, s15, 1
	s_xor_b32 s73, s67, 0x80000000
	s_delay_alu instid0(SALU_CYCLE_1) | instskip(SKIP_1) | instid1(SALU_CYCLE_2)
	s_fmac_f32 s71, s73, s15
	v_cmp_class_f32_e64 s15, s14, 0x260
	s_cmp_gt_f32 s71, 0
	s_cselect_b32 s49, s67, s49
	s_cmp_lt_f32 s7, 0xf800000
	s_mul_f32 s7, s49, 0x37800000
	s_delay_alu instid0(SALU_CYCLE_3) | instskip(SKIP_2) | instid1(SALU_CYCLE_1)
	s_cselect_b32 s7, s7, s49
	s_and_b32 s15, s15, exec_lo
	s_cselect_b32 s7, s14, s7
	v_div_scale_f32 v11, null, s7, s7, 1.0
	s_delay_alu instid0(VALU_DEP_1)
	v_rcp_f32_e32 v12, v11
	v_nop
	v_xor_b32_e32 v11, 0x80000000, v11
	s_delay_alu instid0(TRANS32_DEP_1) | instid1(VALU_DEP_1)
	v_fma_f32 v13, v11, v12, 1.0
	s_delay_alu instid0(VALU_DEP_1) | instskip(SKIP_1) | instid1(VALU_DEP_1)
	v_fmac_f32_e32 v12, v13, v12
	v_div_scale_f32 v13, vcc_lo, 1.0, s7, 1.0
	v_mul_f32_e32 v14, v13, v12
	s_delay_alu instid0(VALU_DEP_1) | instskip(NEXT) | instid1(VALU_DEP_1)
	v_fma_f32 v15, v11, v14, v13
	v_fmac_f32_e32 v14, v15, v12
	s_delay_alu instid0(VALU_DEP_1) | instskip(NEXT) | instid1(VALU_DEP_1)
	v_fmac_f32_e32 v13, v11, v14
	v_div_fmas_f32 v11, v13, v12, v14
	s_delay_alu instid0(VALU_DEP_1) | instskip(NEXT) | instid1(VALU_DEP_1)
	v_div_fixup_f32 v13, v11, s7, 1.0
	v_mul_f32_e32 v12, v10, v13
.LBB7_97:                               ;   in Loop: Header=BB7_11 Depth=1
	s_delay_alu instid0(VALU_DEP_1)
	v_pk_mul_f32 v[10:11], v[8:9], v[12:13]
	s_sub_nc_u64 s[82:83], 0, s[62:63]
	s_lshl_b64 s[14:15], s[74:75], 2
	s_sub_nc_u64 s[82:83], s[62:63], s[82:83]
	s_add_nc_u64 s[90:91], s[76:77], s[14:15]
	v_add_f32_e32 v10, v10, v11
	s_lshl_b64 s[14:15], s[82:83], 2
	s_and_b32 s7, s20, s48
	s_add_nc_u64 s[88:89], s[90:91], s[14:15]
	s_lshl_b64 s[76:77], s[64:65], 2
	s_clause 0x1
	global_store_b32 v3, v10, s[80:81] offset:-4
	global_load_b32 v10, v3, s[88:89] offset:-4
	v_cndmask_b32_e64 v14, 0, 1, s7
	s_add_nc_u64 s[84:85], s[26:27], s[76:77]
	s_and_not1_b32 vcc_lo, exec_lo, s7
	s_add_nc_u64 s[86:87], s[84:85], s[18:19]
	s_wait_loadcnt 0x0
	v_mul_f32_e32 v11, v12, v10
	global_store_b32 v3, v11, s[88:89] offset:-4
	s_cbranch_vccnz .LBB7_99
; %bb.98:                               ;   in Loop: Header=BB7_11 Depth=1
	s_wait_xcnt 0x0
	v_mov_b32_e32 v11, s72
	s_clause 0x1
	global_store_b32 v3, v12, s[86:87] offset:12
	global_store_b32 v11, v13, s[86:87] offset:12 scale_offset
.LBB7_99:                               ;   in Loop: Header=BB7_11 Depth=1
	s_cmp_lg_u32 s62, 1
	s_cselect_b32 s7, -1, 0
	s_cmp_eq_u32 s62, 1
	s_cselect_b32 s14, -1, 0
	s_delay_alu instid0(SALU_CYCLE_1) | instskip(NEXT) | instid1(SALU_CYCLE_1)
	s_or_b32 s14, s104, s14
	s_and_b32 vcc_lo, exec_lo, s14
	s_cbranch_vccnz .LBB7_101
; %bb.100:                              ;   in Loop: Header=BB7_11 Depth=1
	s_ashr_i32 s67, s66, 31
	s_wait_xcnt 0x0
	v_mov_b32_e32 v11, s72
	s_add_nc_u64 s[18:19], s[78:79], s[66:67]
	s_delay_alu instid0(SALU_CYCLE_1) | instskip(NEXT) | instid1(SALU_CYCLE_1)
	s_lshl_b64 s[18:19], s[18:19], 2
	s_add_nc_u64 s[18:19], s[84:85], s[18:19]
	s_clause 0x1
	global_store_b32 v3, v12, s[18:19] offset:12
	global_store_b32 v11, v13, s[18:19] offset:12 scale_offset
.LBB7_101:                              ;   in Loop: Header=BB7_11 Depth=1
	s_wait_xcnt 0x0
	v_xor_b32_e32 v11, 0x80000000, v13
	s_delay_alu instid0(VALU_DEP_1) | instskip(NEXT) | instid1(VALU_DEP_1)
	v_dual_mul_f32 v13, v8, v13 :: v_dual_mul_f32 v8, v10, v11
	v_xor_b32_e32 v10, 0x80000000, v13
	s_delay_alu instid0(VALU_DEP_2) | instskip(NEXT) | instid1(VALU_DEP_2)
	v_cmp_eq_f32_e32 vcc_lo, 0, v8
	v_fmac_f32_e32 v10, v9, v12
	s_cbranch_vccnz .LBB7_105
; %bb.102:                              ;   in Loop: Header=BB7_11 Depth=1
	s_delay_alu instid0(VALU_DEP_1)
	v_cmp_eq_f32_e32 vcc_lo, 0, v10
	s_cbranch_vccnz .LBB7_106
; %bb.103:                              ;   in Loop: Header=BB7_11 Depth=1
	v_and_b32_e32 v9, 0x7fffffff, v8
	v_and_b32_e32 v11, 0x7fffffff, v10
	s_delay_alu instid0(VALU_DEP_1)
	v_cmp_gt_f32_e32 vcc_lo, v9, v11
	s_cbranch_vccnz .LBB7_107
; %bb.104:                              ;   in Loop: Header=BB7_11 Depth=1
	v_div_scale_f32 v9, null, v10, v10, -v8
	v_div_scale_f32 v13, vcc_lo, -v8, v10, -v8
	s_delay_alu instid0(VALU_DEP_2)
	v_rcp_f32_e32 v11, v9
	v_nop
	v_xor_b32_e32 v9, 0x80000000, v9
	s_delay_alu instid0(TRANS32_DEP_1) | instid1(VALU_DEP_1)
	v_fma_f32 v12, v9, v11, 1.0
	s_delay_alu instid0(VALU_DEP_1) | instskip(NEXT) | instid1(VALU_DEP_1)
	v_fmac_f32_e32 v11, v12, v11
	v_mul_f32_e32 v12, v13, v11
	s_delay_alu instid0(VALU_DEP_1) | instskip(NEXT) | instid1(VALU_DEP_1)
	v_fma_f32 v15, v9, v12, v13
	v_fmac_f32_e32 v12, v15, v11
	s_delay_alu instid0(VALU_DEP_1) | instskip(NEXT) | instid1(VALU_DEP_1)
	v_fmac_f32_e32 v13, v9, v12
	v_div_fmas_f32 v9, v13, v11, v12
	s_delay_alu instid0(VALU_DEP_1) | instskip(NEXT) | instid1(VALU_DEP_1)
	v_div_fixup_f32 v9, v9, v10, -v8
	v_readfirstlane_b32 s15, v9
	s_fmaak_f32 s15, s15, s15, 0x3f800000
	s_delay_alu instid0(SALU_CYCLE_3) | instskip(SKIP_1) | instid1(SALU_CYCLE_2)
	s_mul_f32 s18, s15, 0x4f800000
	s_cmp_lt_f32 s15, 0xf800000
	s_cselect_b32 s18, s18, s15
	s_delay_alu instid0(SALU_CYCLE_1) | instskip(SKIP_1) | instid1(TRANS32_DEP_1)
	v_s_sqrt_f32 s19, s18
	s_mov_b32 s67, s18
	s_add_co_i32 s49, s19, -1
	s_delay_alu instid0(SALU_CYCLE_1) | instskip(NEXT) | instid1(SALU_CYCLE_1)
	s_xor_b32 s71, s49, 0x80000000
	s_fmac_f32 s67, s71, s19
	s_mov_b32 s71, s18
	s_delay_alu instid0(SALU_CYCLE_2) | instskip(SKIP_2) | instid1(SALU_CYCLE_1)
	s_cmp_le_f32 s67, 0
	s_cselect_b32 s49, s49, s19
	s_add_co_i32 s67, s19, 1
	s_xor_b32 s73, s67, 0x80000000
	s_delay_alu instid0(SALU_CYCLE_1) | instskip(SKIP_1) | instid1(SALU_CYCLE_2)
	s_fmac_f32 s71, s73, s19
	v_cmp_class_f32_e64 s19, s18, 0x260
	s_cmp_gt_f32 s71, 0
	s_cselect_b32 s49, s67, s49
	s_cmp_lt_f32 s15, 0xf800000
	s_mul_f32 s15, s49, 0x37800000
	s_delay_alu instid0(SALU_CYCLE_3) | instskip(SKIP_2) | instid1(SALU_CYCLE_1)
	s_cselect_b32 s15, s15, s49
	s_and_b32 s19, s19, exec_lo
	s_cselect_b32 s15, s18, s15
	v_div_scale_f32 v11, null, s15, s15, 1.0
	s_delay_alu instid0(VALU_DEP_1)
	v_rcp_f32_e32 v12, v11
	v_nop
	v_xor_b32_e32 v11, 0x80000000, v11
	s_delay_alu instid0(TRANS32_DEP_1) | instid1(VALU_DEP_1)
	v_fma_f32 v13, v11, v12, 1.0
	s_delay_alu instid0(VALU_DEP_1) | instskip(SKIP_1) | instid1(VALU_DEP_1)
	v_fmac_f32_e32 v12, v13, v12
	v_div_scale_f32 v13, vcc_lo, 1.0, s15, 1.0
	v_mul_f32_e32 v15, v13, v12
	s_delay_alu instid0(VALU_DEP_1) | instskip(NEXT) | instid1(VALU_DEP_1)
	v_fma_f32 v16, v11, v15, v13
	v_fmac_f32_e32 v15, v16, v12
	s_delay_alu instid0(VALU_DEP_1) | instskip(NEXT) | instid1(VALU_DEP_1)
	v_fmac_f32_e32 v13, v11, v15
	v_div_fmas_f32 v11, v13, v12, v15
	s_delay_alu instid0(VALU_DEP_1) | instskip(NEXT) | instid1(VALU_DEP_1)
	v_div_fixup_f32 v12, v11, s15, 1.0
	v_mul_f32_e32 v13, v9, v12
	s_cbranch_execz .LBB7_108
	s_branch .LBB7_109
.LBB7_105:                              ;   in Loop: Header=BB7_11 Depth=1
	v_dual_mov_b32 v13, 0 :: v_dual_mov_b32 v12, 1.0
	s_branch .LBB7_111
.LBB7_106:                              ;   in Loop: Header=BB7_11 Depth=1
	v_xor_b32_e32 v10, 0x80000000, v8
                                        ; implicit-def: $vgpr13
	s_cbranch_execnz .LBB7_110
	s_branch .LBB7_111
.LBB7_107:                              ;   in Loop: Header=BB7_11 Depth=1
                                        ; implicit-def: $vgpr13
.LBB7_108:                              ;   in Loop: Header=BB7_11 Depth=1
	v_div_scale_f32 v9, null, v8, v8, -v10
	v_div_scale_f32 v13, vcc_lo, -v10, v8, -v10
	s_delay_alu instid0(VALU_DEP_2)
	v_rcp_f32_e32 v11, v9
	v_nop
	v_xor_b32_e32 v9, 0x80000000, v9
	s_delay_alu instid0(TRANS32_DEP_1) | instid1(VALU_DEP_1)
	v_fma_f32 v12, v9, v11, 1.0
	s_delay_alu instid0(VALU_DEP_1) | instskip(NEXT) | instid1(VALU_DEP_1)
	v_fmac_f32_e32 v11, v12, v11
	v_mul_f32_e32 v12, v13, v11
	s_delay_alu instid0(VALU_DEP_1) | instskip(NEXT) | instid1(VALU_DEP_1)
	v_fma_f32 v15, v9, v12, v13
	v_fmac_f32_e32 v12, v15, v11
	s_delay_alu instid0(VALU_DEP_1) | instskip(NEXT) | instid1(VALU_DEP_1)
	v_fmac_f32_e32 v13, v9, v12
	v_div_fmas_f32 v9, v13, v11, v12
	s_delay_alu instid0(VALU_DEP_1) | instskip(NEXT) | instid1(VALU_DEP_1)
	v_div_fixup_f32 v9, v9, v8, -v10
	v_readfirstlane_b32 s15, v9
	s_fmaak_f32 s15, s15, s15, 0x3f800000
	s_delay_alu instid0(SALU_CYCLE_3) | instskip(SKIP_1) | instid1(SALU_CYCLE_2)
	s_mul_f32 s18, s15, 0x4f800000
	s_cmp_lt_f32 s15, 0xf800000
	s_cselect_b32 s18, s18, s15
	s_delay_alu instid0(SALU_CYCLE_1) | instskip(SKIP_1) | instid1(TRANS32_DEP_1)
	v_s_sqrt_f32 s19, s18
	s_mov_b32 s67, s18
	s_add_co_i32 s49, s19, -1
	s_delay_alu instid0(SALU_CYCLE_1) | instskip(NEXT) | instid1(SALU_CYCLE_1)
	s_xor_b32 s71, s49, 0x80000000
	s_fmac_f32 s67, s71, s19
	s_mov_b32 s71, s18
	s_delay_alu instid0(SALU_CYCLE_2) | instskip(SKIP_2) | instid1(SALU_CYCLE_1)
	s_cmp_le_f32 s67, 0
	s_cselect_b32 s49, s49, s19
	s_add_co_i32 s67, s19, 1
	s_xor_b32 s73, s67, 0x80000000
	s_delay_alu instid0(SALU_CYCLE_1) | instskip(SKIP_1) | instid1(SALU_CYCLE_2)
	s_fmac_f32 s71, s73, s19
	v_cmp_class_f32_e64 s19, s18, 0x260
	s_cmp_gt_f32 s71, 0
	s_cselect_b32 s49, s67, s49
	s_cmp_lt_f32 s15, 0xf800000
	s_mul_f32 s15, s49, 0x37800000
	s_delay_alu instid0(SALU_CYCLE_3) | instskip(SKIP_2) | instid1(SALU_CYCLE_1)
	s_cselect_b32 s15, s15, s49
	s_and_b32 s19, s19, exec_lo
	s_cselect_b32 s15, s18, s15
	v_div_scale_f32 v11, null, s15, s15, 1.0
	s_delay_alu instid0(VALU_DEP_1)
	v_rcp_f32_e32 v12, v11
	v_nop
	v_xor_b32_e32 v11, 0x80000000, v11
	s_delay_alu instid0(TRANS32_DEP_1) | instid1(VALU_DEP_1)
	v_fma_f32 v13, v11, v12, 1.0
	s_delay_alu instid0(VALU_DEP_1) | instskip(SKIP_1) | instid1(VALU_DEP_1)
	v_fmac_f32_e32 v12, v13, v12
	v_div_scale_f32 v13, vcc_lo, 1.0, s15, 1.0
	v_mul_f32_e32 v15, v13, v12
	s_delay_alu instid0(VALU_DEP_1) | instskip(NEXT) | instid1(VALU_DEP_1)
	v_fma_f32 v16, v11, v15, v13
	v_fmac_f32_e32 v15, v16, v12
	s_delay_alu instid0(VALU_DEP_1) | instskip(NEXT) | instid1(VALU_DEP_1)
	v_fmac_f32_e32 v13, v11, v15
	v_div_fmas_f32 v11, v13, v12, v15
	s_delay_alu instid0(VALU_DEP_1) | instskip(NEXT) | instid1(VALU_DEP_1)
	v_div_fixup_f32 v13, v11, s15, 1.0
	v_mul_f32_e32 v12, v9, v13
.LBB7_109:                              ;   in Loop: Header=BB7_11 Depth=1
	v_mov_b32_e32 v11, v8
	s_delay_alu instid0(VALU_DEP_1) | instskip(NEXT) | instid1(VALU_DEP_1)
	v_pk_mul_f32 v[10:11], v[10:11], v[12:13]
	v_sub_f32_e32 v10, v10, v11
	s_branch .LBB7_111
.LBB7_110:                              ;   in Loop: Header=BB7_11 Depth=1
	v_dual_mov_b32 v13, 1.0 :: v_dual_mov_b32 v12, 0
.LBB7_111:                              ;   in Loop: Header=BB7_11 Depth=1
	s_clause 0x2
	global_store_b32 v3, v10, s[90:91]
	global_load_b32 v9, v3, s[88:89] offset:-4
	global_load_b32 v10, v3, s[80:81] offset:-4
	s_cmp_eq_u32 s72, 2
	s_wait_loadcnt 0x1
	v_mul_f32_e32 v11, v12, v9
	s_wait_loadcnt 0x0
	s_delay_alu instid0(VALU_DEP_1)
	v_fmac_f32_e32 v11, v13, v10
	global_store_b32 v3, v11, s[88:89] offset:-4
	s_cbranch_scc0 .LBB7_169
; %bb.112:                              ;   in Loop: Header=BB7_11 Depth=1
	s_and_b32 s7, s20, s7
	s_delay_alu instid0(SALU_CYCLE_1)
	v_cndmask_b32_e64 v15, 0, 1, s7
	s_and_not1_b32 vcc_lo, exec_lo, s7
	s_cbranch_vccz .LBB7_170
.LBB7_113:                              ;   in Loop: Header=BB7_11 Depth=1
	s_xor_b32 s7, s48, -1
	s_delay_alu instid0(SALU_CYCLE_1) | instskip(NEXT) | instid1(SALU_CYCLE_1)
	s_or_b32 s15, s104, s7
	s_and_b32 vcc_lo, exec_lo, s15
	s_cbranch_vccnz .LBB7_115
.LBB7_114:                              ;   in Loop: Header=BB7_11 Depth=1
	s_ashr_i32 s67, s66, 31
	s_wait_xcnt 0x0
	v_mov_b32_e32 v11, s72
	s_add_nc_u64 s[18:19], s[78:79], s[66:67]
	s_delay_alu instid0(SALU_CYCLE_1) | instskip(NEXT) | instid1(SALU_CYCLE_1)
	s_lshl_b64 s[18:19], s[18:19], 2
	s_add_nc_u64 s[18:19], s[84:85], s[18:19]
	s_clause 0x1
	global_store_b32 v3, v12, s[18:19] offset:12
	global_store_b32 v11, v13, s[18:19] offset:12 scale_offset
.LBB7_115:                              ;   in Loop: Header=BB7_11 Depth=1
	v_mul_f32_e32 v9, v13, v9
	s_cmp_eq_u32 s54, 1
	s_mov_b32 s7, 0
	s_delay_alu instid0(VALU_DEP_1) | instskip(NEXT) | instid1(VALU_DEP_1)
	v_xor_b32_e32 v9, 0x80000000, v9
	v_fmac_f32_e32 v9, v12, v10
	s_cbranch_scc1 .LBB7_148
; %bb.116:                              ;   in Loop: Header=BB7_11 Depth=1
	s_ashr_i32 s67, s66, 31
	s_wait_xcnt 0x0
	s_sub_co_i32 s18, s74, s70
	s_add_nc_u64 s[78:79], s[82:83], s[66:67]
	s_ashr_i32 s19, s18, 31
	v_readlane_b32 s0, v23, 0
	s_add_nc_u64 s[78:79], s[78:79], s[18:19]
	v_readlane_b32 s1, v23, 1
	s_xor_b32 s49, s14, -1
	s_xor_b32 s67, s15, -1
	s_lshl_b64 s[14:15], s[78:79], 2
	s_lshl_b64 s[82:83], s[62:63], 3
	s_ashr_i32 s73, s72, 31
	s_add_nc_u64 s[78:79], s[14:15], s[76:77]
	s_add_nc_u64 s[76:77], s[82:83], s[76:77]
	s_lshl_b64 s[86:87], s[18:19], 2
	s_lshl_b64 s[80:81], s[72:73], 2
	s_add_nc_u64 s[88:89], s[76:77], s[86:87]
	s_add_nc_u64 s[90:91], s[0:1], s[58:59]
	;; [unrolled: 1-line block ×8, first 2 shown]
	s_mul_u64 s[88:89], s[62:63], 12
	s_lshl_b64 s[18:19], s[18:19], 2
	s_ashr_i32 s71, s70, 31
	v_readlane_b32 s0, v23, 5
	v_readlane_b32 s1, v23, 6
	s_add_nc_u64 s[18:19], s[88:89], s[18:19]
	s_lshl_b64 s[70:71], s[70:71], 2
	s_add_nc_u64 s[88:89], s[82:83], s[60:61]
	s_sub_nc_u64 s[18:19], s[18:19], s[70:71]
	s_add_co_i32 s84, s74, s55
	s_add_nc_u64 s[70:71], s[0:1], s[18:19]
	v_readlane_b32 s0, v23, 7
	v_readlane_b32 s1, v23, 8
	s_add_nc_u64 s[72:73], s[44:45], s[14:15]
	s_lshl_b32 s15, s62, 1
	s_add_nc_u64 s[82:83], s[88:89], s[86:87]
	s_add_co_i32 s74, s15, -2
	s_add_nc_u64 s[82:83], s[0:1], s[82:83]
	s_ashr_i32 s85, s84, 31
	v_readlane_b32 s0, v23, 9
	v_readlane_b32 s1, v23, 10
	s_ashr_i32 s75, s74, 31
	s_add_nc_u64 s[18:19], s[60:61], s[86:87]
	s_lshl_b64 s[86:87], s[84:85], 2
	s_lshl_b64 s[74:75], s[74:75], 2
	s_add_nc_u64 s[84:85], s[16:17], s[18:19]
	s_add_nc_u64 s[18:19], s[88:89], s[86:87]
	;; [unrolled: 1-line block ×3, first 2 shown]
	s_add_co_i32 s7, s54, -1
	s_mov_b32 s14, 1
	s_or_b64 s[74:75], s[74:75], 4
	s_add_nc_u64 s[86:87], s[0:1], s[18:19]
	s_add_nc_u64 s[88:89], s[12:13], s[88:89]
	s_mov_b64 s[90:91], 0
	s_branch .LBB7_118
.LBB7_117:                              ;   in Loop: Header=BB7_118 Depth=2
	v_mul_f32_e32 v9, v13, v9
	s_add_co_i32 s14, s14, 1
	s_add_nc_u64 s[90:91], s[90:91], s[74:75]
	s_cmp_eq_u32 s54, s14
	s_delay_alu instid0(VALU_DEP_1) | instskip(NEXT) | instid1(VALU_DEP_1)
	v_xor_b32_e32 v9, 0x80000000, v9
	v_fmac_f32_e32 v9, v12, v10
	s_cbranch_scc1 .LBB7_148
.LBB7_118:                              ;   Parent Loop BB7_11 Depth=1
                                        ; =>  This Inner Loop Header: Depth=2
	v_cmp_eq_f32_e32 vcc_lo, 0, v8
	s_cbranch_vccnz .LBB7_122
; %bb.119:                              ;   in Loop: Header=BB7_118 Depth=2
	s_delay_alu instid0(VALU_DEP_2)
	v_cmp_neq_f32_e32 vcc_lo, 0, v9
	s_cbranch_vccz .LBB7_123
; %bb.120:                              ;   in Loop: Header=BB7_118 Depth=2
	v_and_b32_e32 v10, 0x7fffffff, v8
	s_wait_xcnt 0x0
	v_and_b32_e32 v11, 0x7fffffff, v9
	s_delay_alu instid0(VALU_DEP_1)
	v_cmp_ngt_f32_e32 vcc_lo, v10, v11
	s_cbranch_vccz .LBB7_124
; %bb.121:                              ;   in Loop: Header=BB7_118 Depth=2
	v_div_scale_f32 v10, null, v9, v9, -v8
	v_div_scale_f32 v13, vcc_lo, -v8, v9, -v8
	s_delay_alu instid0(VALU_DEP_2)
	v_rcp_f32_e32 v11, v10
	v_nop
	v_xor_b32_e32 v10, 0x80000000, v10
	s_delay_alu instid0(TRANS32_DEP_1) | instid1(VALU_DEP_1)
	v_fma_f32 v12, v10, v11, 1.0
	s_delay_alu instid0(VALU_DEP_1) | instskip(NEXT) | instid1(VALU_DEP_1)
	v_fmac_f32_e32 v11, v12, v11
	v_mul_f32_e32 v12, v13, v11
	s_delay_alu instid0(VALU_DEP_1) | instskip(NEXT) | instid1(VALU_DEP_1)
	v_fma_f32 v16, v10, v12, v13
	v_fmac_f32_e32 v12, v16, v11
	s_delay_alu instid0(VALU_DEP_1) | instskip(NEXT) | instid1(VALU_DEP_1)
	v_fmac_f32_e32 v13, v10, v12
	v_div_fmas_f32 v10, v13, v11, v12
	s_delay_alu instid0(VALU_DEP_1) | instskip(NEXT) | instid1(VALU_DEP_1)
	v_div_fixup_f32 v10, v10, v9, -v8
	v_readfirstlane_b32 s15, v10
	s_fmaak_f32 s15, s15, s15, 0x3f800000
	s_delay_alu instid0(SALU_CYCLE_3) | instskip(SKIP_1) | instid1(SALU_CYCLE_2)
	s_mul_f32 s18, s15, 0x4f800000
	s_cmp_lt_f32 s15, 0xf800000
	s_cselect_b32 s18, s18, s15
	s_delay_alu instid0(SALU_CYCLE_1) | instskip(SKIP_1) | instid1(TRANS32_DEP_1)
	v_s_sqrt_f32 s19, s18
	s_mov_b32 s63, s18
	s_add_co_i32 s59, s19, -1
	s_delay_alu instid0(SALU_CYCLE_1) | instskip(NEXT) | instid1(SALU_CYCLE_1)
	s_xor_b32 s92, s59, 0x80000000
	s_fmac_f32 s63, s92, s19
	s_mov_b32 s92, s18
	s_delay_alu instid0(SALU_CYCLE_2) | instskip(SKIP_2) | instid1(SALU_CYCLE_1)
	s_cmp_le_f32 s63, 0
	s_cselect_b32 s59, s59, s19
	s_add_co_i32 s63, s19, 1
	s_xor_b32 s93, s63, 0x80000000
	s_delay_alu instid0(SALU_CYCLE_1) | instskip(SKIP_1) | instid1(SALU_CYCLE_2)
	s_fmac_f32 s92, s93, s19
	v_cmp_class_f32_e64 s19, s18, 0x260
	s_cmp_gt_f32 s92, 0
	s_cselect_b32 s59, s63, s59
	s_cmp_lt_f32 s15, 0xf800000
	s_mul_f32 s15, s59, 0x37800000
	s_delay_alu instid0(SALU_CYCLE_3) | instskip(SKIP_2) | instid1(SALU_CYCLE_1)
	s_cselect_b32 s15, s15, s59
	s_and_b32 s19, s19, exec_lo
	s_cselect_b32 s15, s18, s15
	v_div_scale_f32 v11, null, s15, s15, 1.0
	s_delay_alu instid0(VALU_DEP_1)
	v_rcp_f32_e32 v12, v11
	v_nop
	v_xor_b32_e32 v11, 0x80000000, v11
	s_delay_alu instid0(TRANS32_DEP_1) | instid1(VALU_DEP_1)
	v_fma_f32 v13, v11, v12, 1.0
	s_delay_alu instid0(VALU_DEP_1) | instskip(SKIP_1) | instid1(VALU_DEP_1)
	v_fmac_f32_e32 v12, v13, v12
	v_div_scale_f32 v13, vcc_lo, 1.0, s15, 1.0
	v_mul_f32_e32 v16, v13, v12
	s_delay_alu instid0(VALU_DEP_1) | instskip(NEXT) | instid1(VALU_DEP_1)
	v_fma_f32 v17, v11, v16, v13
	v_fmac_f32_e32 v16, v17, v12
	s_delay_alu instid0(VALU_DEP_1) | instskip(NEXT) | instid1(VALU_DEP_1)
	v_fmac_f32_e32 v13, v11, v16
	v_div_fmas_f32 v11, v13, v12, v16
	s_delay_alu instid0(VALU_DEP_1) | instskip(NEXT) | instid1(VALU_DEP_1)
	v_div_fixup_f32 v11, v11, s15, 1.0
	v_mul_f32_e32 v10, v10, v11
	s_cbranch_execz .LBB7_125
	s_branch .LBB7_126
.LBB7_122:                              ;   in Loop: Header=BB7_118 Depth=2
	s_wait_xcnt 0x0
	v_dual_mov_b32 v10, 0 :: v_dual_mov_b32 v11, 1.0
	s_branch .LBB7_128
.LBB7_123:                              ;   in Loop: Header=BB7_118 Depth=2
	v_xor_b32_e32 v9, 0x80000000, v8
                                        ; implicit-def: $vgpr10
	s_cbranch_execnz .LBB7_127
	s_branch .LBB7_128
.LBB7_124:                              ;   in Loop: Header=BB7_118 Depth=2
                                        ; implicit-def: $vgpr11
.LBB7_125:                              ;   in Loop: Header=BB7_118 Depth=2
	v_div_scale_f32 v10, null, v8, v8, -v9
	v_div_scale_f32 v13, vcc_lo, -v9, v8, -v9
	s_delay_alu instid0(VALU_DEP_2)
	v_rcp_f32_e32 v11, v10
	v_nop
	v_xor_b32_e32 v10, 0x80000000, v10
	s_delay_alu instid0(TRANS32_DEP_1) | instid1(VALU_DEP_1)
	v_fma_f32 v12, v10, v11, 1.0
	s_delay_alu instid0(VALU_DEP_1) | instskip(NEXT) | instid1(VALU_DEP_1)
	v_fmac_f32_e32 v11, v12, v11
	v_mul_f32_e32 v12, v13, v11
	s_delay_alu instid0(VALU_DEP_1) | instskip(NEXT) | instid1(VALU_DEP_1)
	v_fma_f32 v16, v10, v12, v13
	v_fmac_f32_e32 v12, v16, v11
	s_delay_alu instid0(VALU_DEP_1) | instskip(NEXT) | instid1(VALU_DEP_1)
	v_fmac_f32_e32 v13, v10, v12
	v_div_fmas_f32 v10, v13, v11, v12
	s_delay_alu instid0(VALU_DEP_1) | instskip(NEXT) | instid1(VALU_DEP_1)
	v_div_fixup_f32 v11, v10, v8, -v9
	v_readfirstlane_b32 s15, v11
	s_fmaak_f32 s15, s15, s15, 0x3f800000
	s_delay_alu instid0(SALU_CYCLE_3) | instskip(SKIP_1) | instid1(SALU_CYCLE_2)
	s_mul_f32 s18, s15, 0x4f800000
	s_cmp_lt_f32 s15, 0xf800000
	s_cselect_b32 s18, s18, s15
	s_delay_alu instid0(SALU_CYCLE_1) | instskip(SKIP_1) | instid1(TRANS32_DEP_1)
	v_s_sqrt_f32 s19, s18
	s_mov_b32 s63, s18
	s_add_co_i32 s59, s19, -1
	s_delay_alu instid0(SALU_CYCLE_1) | instskip(NEXT) | instid1(SALU_CYCLE_1)
	s_xor_b32 s92, s59, 0x80000000
	s_fmac_f32 s63, s92, s19
	s_mov_b32 s92, s18
	s_delay_alu instid0(SALU_CYCLE_2) | instskip(SKIP_2) | instid1(SALU_CYCLE_1)
	s_cmp_le_f32 s63, 0
	s_cselect_b32 s59, s59, s19
	s_add_co_i32 s63, s19, 1
	s_xor_b32 s93, s63, 0x80000000
	s_delay_alu instid0(SALU_CYCLE_1) | instskip(SKIP_1) | instid1(SALU_CYCLE_2)
	s_fmac_f32 s92, s93, s19
	v_cmp_class_f32_e64 s19, s18, 0x260
	s_cmp_gt_f32 s92, 0
	s_cselect_b32 s59, s63, s59
	s_cmp_lt_f32 s15, 0xf800000
	s_mul_f32 s15, s59, 0x37800000
	s_delay_alu instid0(SALU_CYCLE_3) | instskip(SKIP_2) | instid1(SALU_CYCLE_1)
	s_cselect_b32 s15, s15, s59
	s_and_b32 s19, s19, exec_lo
	s_cselect_b32 s15, s18, s15
	v_div_scale_f32 v10, null, s15, s15, 1.0
	s_delay_alu instid0(VALU_DEP_1)
	v_rcp_f32_e32 v12, v10
	v_nop
	v_xor_b32_e32 v10, 0x80000000, v10
	s_delay_alu instid0(TRANS32_DEP_1) | instid1(VALU_DEP_1)
	v_fma_f32 v13, v10, v12, 1.0
	s_delay_alu instid0(VALU_DEP_1) | instskip(SKIP_1) | instid1(VALU_DEP_1)
	v_fmac_f32_e32 v12, v13, v12
	v_div_scale_f32 v13, vcc_lo, 1.0, s15, 1.0
	v_mul_f32_e32 v16, v13, v12
	s_delay_alu instid0(VALU_DEP_1) | instskip(NEXT) | instid1(VALU_DEP_1)
	v_fma_f32 v17, v10, v16, v13
	v_fmac_f32_e32 v16, v17, v12
	s_delay_alu instid0(VALU_DEP_1) | instskip(NEXT) | instid1(VALU_DEP_1)
	v_fmac_f32_e32 v13, v10, v16
	v_div_fmas_f32 v10, v13, v12, v16
	s_delay_alu instid0(VALU_DEP_1) | instskip(NEXT) | instid1(VALU_DEP_1)
	v_div_fixup_f32 v10, v10, s15, 1.0
	v_mul_f32_e32 v11, v11, v10
.LBB7_126:                              ;   in Loop: Header=BB7_118 Depth=2
	s_delay_alu instid0(VALU_DEP_1) | instskip(NEXT) | instid1(VALU_DEP_1)
	v_pk_mul_f32 v[8:9], v[8:9], v[10:11]
	v_sub_f32_e32 v9, v9, v8
	s_branch .LBB7_128
.LBB7_127:                              ;   in Loop: Header=BB7_118 Depth=2
	s_wait_xcnt 0x0
	v_dual_mov_b32 v10, 1.0 :: v_dual_mov_b32 v11, 0
.LBB7_128:                              ;   in Loop: Header=BB7_118 Depth=2
	s_wait_xcnt 0x0
	s_add_nc_u64 s[18:19], s[84:85], s[90:91]
	s_add_nc_u64 s[100:101], s[82:83], s[90:91]
	s_clause 0x1
	global_store_b32 v3, v9, s[18:19]
	global_load_b32 v8, v3, s[100:101]
	s_wait_xcnt 0x1
	s_add_nc_u64 s[18:19], s[88:89], s[90:91]
	s_add_nc_u64 s[102:103], s[86:87], s[90:91]
	global_load_b32 v9, v3, s[18:19]
	v_cmp_ne_u32_e32 vcc_lo, 1, v14
	s_add_nc_u64 s[92:93], s[80:81], s[90:91]
	s_add_nc_u64 s[94:95], s[78:79], s[90:91]
	s_and_b32 vcc_lo, exec_lo, vcc_lo
	s_wait_loadcnt 0x1
	v_mul_f32_e32 v12, v11, v8
	s_wait_loadcnt 0x0
	s_delay_alu instid0(VALU_DEP_1)
	v_fmac_f32_e32 v12, v10, v9
	s_clause 0x1
	global_store_b32 v3, v12, s[100:101]
	global_load_b32 v12, v3, s[102:103]
	s_wait_loadcnt 0x0
	v_mul_f32_e32 v13, v11, v12
	global_store_b32 v3, v13, s[102:103]
	s_cbranch_vccnz .LBB7_130
; %bb.129:                              ;   in Loop: Header=BB7_118 Depth=2
	s_clause 0x1
	global_store_b32 v3, v11, s[92:93]
	global_store_b32 v3, v10, s[94:95]
.LBB7_130:                              ;   in Loop: Header=BB7_118 Depth=2
	s_and_not1_b32 vcc_lo, exec_lo, s49
	s_add_nc_u64 s[96:97], s[76:77], s[90:91]
	s_add_nc_u64 s[98:99], s[72:73], s[90:91]
	s_cbranch_vccnz .LBB7_132
; %bb.131:                              ;   in Loop: Header=BB7_118 Depth=2
	s_clause 0x1
	global_store_b32 v3, v11, s[96:97]
	global_store_b32 v3, v10, s[98:99]
.LBB7_132:                              ;   in Loop: Header=BB7_118 Depth=2
	s_wait_xcnt 0x0
	v_xor_b32_e32 v13, 0x80000000, v10
	s_delay_alu instid0(VALU_DEP_1) | instskip(NEXT) | instid1(VALU_DEP_1)
	v_dual_mul_f32 v10, v10, v8 :: v_dual_mul_f32 v8, v12, v13
	v_xor_b32_e32 v10, 0x80000000, v10
	s_delay_alu instid0(VALU_DEP_2) | instskip(NEXT) | instid1(VALU_DEP_2)
	v_cmp_eq_f32_e32 vcc_lo, 0, v8
	v_fmac_f32_e32 v10, v11, v9
	s_cbranch_vccnz .LBB7_136
; %bb.133:                              ;   in Loop: Header=BB7_118 Depth=2
	s_delay_alu instid0(VALU_DEP_1)
	v_cmp_neq_f32_e32 vcc_lo, 0, v10
	s_cbranch_vccz .LBB7_137
; %bb.134:                              ;   in Loop: Header=BB7_118 Depth=2
	v_and_b32_e32 v9, 0x7fffffff, v8
	v_and_b32_e32 v11, 0x7fffffff, v10
	s_delay_alu instid0(VALU_DEP_1)
	v_cmp_ngt_f32_e32 vcc_lo, v9, v11
	s_cbranch_vccz .LBB7_138
; %bb.135:                              ;   in Loop: Header=BB7_118 Depth=2
	v_div_scale_f32 v9, null, v10, v10, -v8
	v_div_scale_f32 v13, vcc_lo, -v8, v10, -v8
	s_delay_alu instid0(VALU_DEP_2)
	v_rcp_f32_e32 v11, v9
	v_nop
	v_xor_b32_e32 v9, 0x80000000, v9
	s_delay_alu instid0(TRANS32_DEP_1) | instid1(VALU_DEP_1)
	v_fma_f32 v12, v9, v11, 1.0
	s_delay_alu instid0(VALU_DEP_1) | instskip(NEXT) | instid1(VALU_DEP_1)
	v_fmac_f32_e32 v11, v12, v11
	v_mul_f32_e32 v12, v13, v11
	s_delay_alu instid0(VALU_DEP_1) | instskip(NEXT) | instid1(VALU_DEP_1)
	v_fma_f32 v16, v9, v12, v13
	v_fmac_f32_e32 v12, v16, v11
	s_delay_alu instid0(VALU_DEP_1) | instskip(NEXT) | instid1(VALU_DEP_1)
	v_fmac_f32_e32 v13, v9, v12
	v_div_fmas_f32 v9, v13, v11, v12
	s_delay_alu instid0(VALU_DEP_1) | instskip(NEXT) | instid1(VALU_DEP_1)
	v_div_fixup_f32 v9, v9, v10, -v8
	v_readfirstlane_b32 s0, v9
	s_fmaak_f32 s0, s0, s0, 0x3f800000
	s_delay_alu instid0(SALU_CYCLE_3) | instskip(SKIP_1) | instid1(SALU_CYCLE_2)
	s_mul_f32 s1, s0, 0x4f800000
	s_cmp_lt_f32 s0, 0xf800000
	s_cselect_b32 s1, s1, s0
	s_delay_alu instid0(SALU_CYCLE_1) | instskip(SKIP_1) | instid1(TRANS32_DEP_1)
	v_s_sqrt_f32 s6, s1
	s_mov_b32 s50, s1
	s_add_co_i32 s15, s6, -1
	s_delay_alu instid0(SALU_CYCLE_1) | instskip(NEXT) | instid1(SALU_CYCLE_1)
	s_xor_b32 s51, s15, 0x80000000
	s_fmac_f32 s50, s51, s6
	s_mov_b32 s51, s1
	s_delay_alu instid0(SALU_CYCLE_2) | instskip(SKIP_2) | instid1(SALU_CYCLE_1)
	s_cmp_le_f32 s50, 0
	s_cselect_b32 s15, s15, s6
	s_add_co_i32 s50, s6, 1
	s_xor_b32 s59, s50, 0x80000000
	s_delay_alu instid0(SALU_CYCLE_1) | instskip(SKIP_1) | instid1(SALU_CYCLE_2)
	s_fmac_f32 s51, s59, s6
	v_cmp_class_f32_e64 s6, s1, 0x260
	s_cmp_gt_f32 s51, 0
	s_cselect_b32 s15, s50, s15
	s_cmp_lt_f32 s0, 0xf800000
	s_mul_f32 s0, s15, 0x37800000
	s_delay_alu instid0(SALU_CYCLE_3) | instskip(SKIP_2) | instid1(SALU_CYCLE_1)
	s_cselect_b32 s0, s0, s15
	s_and_b32 s6, s6, exec_lo
	s_cselect_b32 s0, s1, s0
	v_div_scale_f32 v11, null, s0, s0, 1.0
	s_delay_alu instid0(VALU_DEP_1)
	v_rcp_f32_e32 v12, v11
	v_nop
	v_xor_b32_e32 v11, 0x80000000, v11
	s_delay_alu instid0(TRANS32_DEP_1) | instid1(VALU_DEP_1)
	v_fma_f32 v13, v11, v12, 1.0
	s_delay_alu instid0(VALU_DEP_1) | instskip(SKIP_1) | instid1(VALU_DEP_1)
	v_fmac_f32_e32 v12, v13, v12
	v_div_scale_f32 v13, vcc_lo, 1.0, s0, 1.0
	v_mul_f32_e32 v16, v13, v12
	s_delay_alu instid0(VALU_DEP_1) | instskip(NEXT) | instid1(VALU_DEP_1)
	v_fma_f32 v17, v11, v16, v13
	v_fmac_f32_e32 v16, v17, v12
	s_delay_alu instid0(VALU_DEP_1) | instskip(NEXT) | instid1(VALU_DEP_1)
	v_fmac_f32_e32 v13, v11, v16
	v_div_fmas_f32 v11, v13, v12, v16
	s_delay_alu instid0(VALU_DEP_1) | instskip(NEXT) | instid1(VALU_DEP_1)
	v_div_fixup_f32 v12, v11, s0, 1.0
	v_mul_f32_e32 v13, v9, v12
	s_cbranch_execz .LBB7_139
	s_branch .LBB7_140
.LBB7_136:                              ;   in Loop: Header=BB7_118 Depth=2
	v_dual_mov_b32 v13, 0 :: v_dual_mov_b32 v12, 1.0
	s_branch .LBB7_142
.LBB7_137:                              ;   in Loop: Header=BB7_118 Depth=2
	v_xor_b32_e32 v10, 0x80000000, v8
                                        ; implicit-def: $vgpr13
	s_cbranch_execnz .LBB7_141
	s_branch .LBB7_142
.LBB7_138:                              ;   in Loop: Header=BB7_118 Depth=2
                                        ; implicit-def: $vgpr13
.LBB7_139:                              ;   in Loop: Header=BB7_118 Depth=2
	v_div_scale_f32 v9, null, v8, v8, -v10
	v_div_scale_f32 v13, vcc_lo, -v10, v8, -v10
	s_delay_alu instid0(VALU_DEP_2)
	v_rcp_f32_e32 v11, v9
	v_nop
	v_xor_b32_e32 v9, 0x80000000, v9
	s_delay_alu instid0(TRANS32_DEP_1) | instid1(VALU_DEP_1)
	v_fma_f32 v12, v9, v11, 1.0
	s_delay_alu instid0(VALU_DEP_1) | instskip(NEXT) | instid1(VALU_DEP_1)
	v_fmac_f32_e32 v11, v12, v11
	v_mul_f32_e32 v12, v13, v11
	s_delay_alu instid0(VALU_DEP_1) | instskip(NEXT) | instid1(VALU_DEP_1)
	v_fma_f32 v16, v9, v12, v13
	v_fmac_f32_e32 v12, v16, v11
	s_delay_alu instid0(VALU_DEP_1) | instskip(NEXT) | instid1(VALU_DEP_1)
	v_fmac_f32_e32 v13, v9, v12
	v_div_fmas_f32 v9, v13, v11, v12
	s_delay_alu instid0(VALU_DEP_1) | instskip(NEXT) | instid1(VALU_DEP_1)
	v_div_fixup_f32 v9, v9, v8, -v10
	v_readfirstlane_b32 s15, v9
	s_fmaak_f32 s15, s15, s15, 0x3f800000
	s_delay_alu instid0(SALU_CYCLE_3) | instskip(SKIP_1) | instid1(SALU_CYCLE_2)
	s_mul_f32 s59, s15, 0x4f800000
	s_cmp_lt_f32 s15, 0xf800000
	s_cselect_b32 s6, s59, s15
	s_delay_alu instid0(SALU_CYCLE_1) | instskip(SKIP_2) | instid1(TRANS32_DEP_1)
	v_s_sqrt_f32 s63, s6
	s_mov_b32 s59, s6
	s_mov_b32 s0, s6
	s_add_co_i32 vcc_lo, s63, -1
	s_delay_alu instid0(SALU_CYCLE_1) | instskip(NEXT) | instid1(SALU_CYCLE_1)
	s_xor_b32 s1, vcc_lo, 0x80000000
	s_fmac_f32 s59, s1, s63
	s_delay_alu instid0(SALU_CYCLE_3) | instskip(SKIP_2) | instid1(SALU_CYCLE_1)
	s_cmp_le_f32 s59, 0
	s_cselect_b32 s1, vcc_lo, s63
	s_add_co_i32 s59, s63, 1
	s_xor_b32 s50, s59, 0x80000000
	s_delay_alu instid0(SALU_CYCLE_1) | instskip(NEXT) | instid1(SALU_CYCLE_3)
	s_fmac_f32 s0, s50, s63
	s_cmp_gt_f32 s0, 0
	v_cmp_class_f32_e64 s0, s6, 0x260
	s_cselect_b32 s1, s59, s1
	s_cmp_lt_f32 s15, 0xf800000
	s_mul_f32 s15, s1, 0x37800000
	s_delay_alu instid0(SALU_CYCLE_3) | instskip(SKIP_2) | instid1(SALU_CYCLE_1)
	s_cselect_b32 s1, s15, s1
	s_and_b32 s0, s0, exec_lo
	s_cselect_b32 s0, s6, s1
	v_div_scale_f32 v11, null, s0, s0, 1.0
	s_delay_alu instid0(VALU_DEP_1)
	v_rcp_f32_e32 v12, v11
	v_nop
	v_xor_b32_e32 v11, 0x80000000, v11
	s_delay_alu instid0(TRANS32_DEP_1) | instid1(VALU_DEP_1)
	v_fma_f32 v13, v11, v12, 1.0
	s_delay_alu instid0(VALU_DEP_1) | instskip(SKIP_1) | instid1(VALU_DEP_1)
	v_fmac_f32_e32 v12, v13, v12
	v_div_scale_f32 v13, vcc_lo, 1.0, s0, 1.0
	v_mul_f32_e32 v16, v13, v12
	s_delay_alu instid0(VALU_DEP_1) | instskip(NEXT) | instid1(VALU_DEP_1)
	v_fma_f32 v17, v11, v16, v13
	v_fmac_f32_e32 v16, v17, v12
	s_delay_alu instid0(VALU_DEP_1) | instskip(NEXT) | instid1(VALU_DEP_1)
	v_fmac_f32_e32 v13, v11, v16
	v_div_fmas_f32 v11, v13, v12, v16
	s_delay_alu instid0(VALU_DEP_1) | instskip(NEXT) | instid1(VALU_DEP_1)
	v_div_fixup_f32 v13, v11, s0, 1.0
	v_mul_f32_e32 v12, v9, v13
.LBB7_140:                              ;   in Loop: Header=BB7_118 Depth=2
	v_mov_b32_e32 v11, v8
	s_delay_alu instid0(VALU_DEP_1) | instskip(NEXT) | instid1(VALU_DEP_1)
	v_pk_mul_f32 v[10:11], v[10:11], v[12:13]
	v_sub_f32_e32 v10, v10, v11
	s_branch .LBB7_142
.LBB7_141:                              ;   in Loop: Header=BB7_118 Depth=2
	v_dual_mov_b32 v13, 1.0 :: v_dual_mov_b32 v12, 0
.LBB7_142:                              ;   in Loop: Header=BB7_118 Depth=2
	s_clause 0x2
	global_store_b32 v3, v10, s[18:19]
	global_load_b32 v9, v3, s[102:103]
	global_load_b32 v10, v3, s[100:101]
	s_cmp_ge_i32 s14, s7
	s_wait_loadcnt 0x1
	v_mul_f32_e32 v11, v12, v9
	s_wait_loadcnt 0x0
	s_delay_alu instid0(VALU_DEP_1)
	v_fmac_f32_e32 v11, v13, v10
	global_store_b32 v3, v11, s[102:103]
	s_cbranch_scc0 .LBB7_145
; %bb.143:                              ;   in Loop: Header=BB7_118 Depth=2
	v_cmp_ne_u32_e32 vcc_lo, 1, v15
	s_cbranch_vccz .LBB7_146
.LBB7_144:                              ;   in Loop: Header=BB7_118 Depth=2
	s_and_not1_b32 vcc_lo, exec_lo, s67
	s_cbranch_vccnz .LBB7_117
	s_branch .LBB7_147
.LBB7_145:                              ;   in Loop: Header=BB7_118 Depth=2
	s_add_nc_u64 s[18:19], s[70:71], s[90:91]
	s_wait_xcnt 0x0
	v_xor_b32_e32 v11, 0x80000000, v13
	global_load_b32 v8, v3, s[18:19]
	s_wait_loadcnt 0x0
	v_mul_f32_e32 v16, v12, v8
	v_mul_f32_e32 v8, v8, v11
	global_store_b32 v3, v16, s[18:19]
	v_cmp_ne_u32_e32 vcc_lo, 1, v15
	s_cbranch_vccnz .LBB7_144
.LBB7_146:                              ;   in Loop: Header=BB7_118 Depth=2
	s_clause 0x1
	global_store_b32 v3, v12, s[92:93]
	global_store_b32 v3, v13, s[94:95]
	s_and_not1_b32 vcc_lo, exec_lo, s67
	s_cbranch_vccnz .LBB7_117
.LBB7_147:                              ;   in Loop: Header=BB7_118 Depth=2
	s_clause 0x1
	global_store_b32 v3, v12, s[96:97]
	global_store_b32 v3, v13, s[98:99]
	s_branch .LBB7_117
.LBB7_148:                              ;   in Loop: Header=BB7_11 Depth=1
	s_and_b32 s14, s48, exec_lo
	s_cselect_b32 s7, s7, 0
	s_delay_alu instid0(SALU_CYCLE_1)
	v_mov_b32_e32 v8, s7
	global_store_b32 v8, v9, s[68:69] scale_offset
.LBB7_149:                              ;   in Loop: Header=BB7_11 Depth=1
	s_wait_xcnt 0x0
	s_or_b32 exec_lo, exec_lo, s57
	s_delay_alu instid0(SALU_CYCLE_1)
	s_and_not1_b32 vcc_lo, exec_lo, vcc_hi
	s_wait_storecnt 0x0
	s_barrier_signal -1
	s_barrier_wait -1
	s_cbranch_vccz .LBB7_152
; %bb.150:                              ;   in Loop: Header=BB7_11 Depth=1
	s_and_not1_b32 vcc_lo, exec_lo, s46
	s_cbranch_vccz .LBB7_158
.LBB7_151:                              ;   in Loop: Header=BB7_11 Depth=1
	s_and_not1_b32 vcc_lo, exec_lo, s47
	s_cbranch_vccnz .LBB7_10
	s_branch .LBB7_164
.LBB7_152:                              ;   in Loop: Header=BB7_11 Depth=1
	s_mov_b32 s7, exec_lo
	v_readlane_b32 s0, v23, 2
	s_and_b32 s0, s7, s0
	s_delay_alu instid0(SALU_CYCLE_1)
	s_mov_b32 exec_lo, s0
	s_cbranch_execz .LBB7_157
; %bb.153:                              ;   in Loop: Header=BB7_11 Depth=1
	s_load_b32 s0, s[38:39], 0xc
	s_add_co_i32 s1, s54, -1
	s_cmp_eq_u32 s62, 0
	v_mov_b32_e32 v22, v0
	s_cselect_b32 s48, s1, 0
	s_cselect_b32 s68, s54, 0
	s_ashr_i32 s49, s48, 31
	s_ashr_i32 s57, s56, 31
	s_lshl_b64 s[70:71], s[64:65], 2
	s_lshl_b32 s1, s62, 1
	s_lshl_b64 s[48:49], s[48:49], 2
	s_lshl_b64 s[72:73], s[56:57], 2
	s_add_co_i32 s78, s1, -2
	s_add_nc_u64 s[48:49], s[48:49], s[70:71]
	s_ashr_i32 s63, s62, 31
	s_ashr_i32 s79, s78, 31
	s_add_nc_u64 s[70:71], s[48:49], s[72:73]
	v_dual_add_nc_u32 v8, s68, v1 :: v_dual_mov_b32 v10, v1
	s_lshl_b64 s[72:73], s[78:79], 2
	s_wait_kmcnt 0x0
	s_and_b32 s15, s0, 0xffff
	v_readlane_b32 s0, v23, 11
	v_readlane_b32 s1, v23, 12
	s_sub_nc_u64 s[70:71], s[70:71], s[60:61]
	s_add_nc_u64 s[74:75], s[52:53], s[48:49]
	s_lshl_b64 s[48:49], s[62:63], 1
	s_ashr_i32 s69, s68, 31
	s_add_nc_u64 s[18:19], s[30:31], s[60:61]
	s_mov_b32 s14, 0
	s_add_nc_u64 s[70:71], s[0:1], s[70:71]
	s_or_b64 s[72:73], s[72:73], 4
	s_add_nc_u64 s[76:77], s[48:49], s[68:69]
	s_mul_i32 s48, s11, s15
	s_or_b64 s[78:79], s[78:79], 1
.LBB7_154:                              ;   Parent Loop BB7_11 Depth=1
                                        ; =>  This Loop Header: Depth=2
                                        ;       Child Loop BB7_155 Depth 3
	v_mad_u32 v9, v22, s11, s68
	v_ashrrev_i32_e32 v11, 31, v10
	s_mov_b64 s[80:81], 0
	s_mov_b32 s49, s54
	global_load_b32 v12, v9, s[18:19] scale_offset
	s_wait_xcnt 0x0
	v_ashrrev_i32_e32 v9, 31, v8
	v_add_nc_u64_e32 v[14:15], s[76:77], v[10:11]
	s_delay_alu instid0(VALU_DEP_2)
	v_lshl_add_u64 v[16:17], v[8:9], 2, s[18:19]
.LBB7_155:                              ;   Parent Loop BB7_11 Depth=1
                                        ;     Parent Loop BB7_154 Depth=2
                                        ; =>    This Inner Loop Header: Depth=3
	s_wait_xcnt 0x1
	s_delay_alu instid0(VALU_DEP_2)
	v_lshl_add_u64 v[18:19], v[14:15], 2, s[18:19]
	s_add_nc_u64 s[82:83], s[74:75], s[80:81]
	s_add_nc_u64 s[84:85], s[70:71], s[80:81]
	s_clause 0x1
	global_load_b32 v24, v3, s[82:83]
	global_load_b32 v25, v3, s[84:85]
	global_load_b32 v13, v[18:19], off offset:-4
	s_wait_xcnt 0x3
	v_add_nc_u64_e32 v[28:29], s[80:81], v[16:17]
	v_add_nc_u64_e32 v[14:15], s[78:79], v[14:15]
	s_add_co_i32 s49, s49, -1
	s_add_nc_u64 s[80:81], s[80:81], s[72:73]
	s_cmp_eq_u32 s49, 0
	s_wait_loadcnt 0x0
	v_pk_mul_f32 v[26:27], v[12:13], v[24:25]
	s_delay_alu instid0(VALU_DEP_1) | instskip(NEXT) | instid1(VALU_DEP_1)
	v_dual_mul_f32 v12, v12, v25 :: v_dual_sub_f32 v9, v26, v27
	v_fmac_f32_e32 v12, v13, v24
	global_store_b32 v[28:29], v9, off
	s_cbranch_scc0 .LBB7_155
; %bb.156:                              ;   in Loop: Header=BB7_154 Depth=2
	v_dual_add_nc_u32 v22, s15, v22 :: v_dual_add_nc_u32 v8, s48, v8
	v_add_nc_u32_e32 v10, s48, v10
	global_store_b32 v[18:19], v12, off offset:-4
	v_cmp_le_i32_e32 vcc_lo, s21, v22
	s_or_b32 s14, vcc_lo, s14
	s_wait_xcnt 0x0
	s_and_not1_b32 exec_lo, exec_lo, s14
	s_cbranch_execnz .LBB7_154
.LBB7_157:                              ;   in Loop: Header=BB7_11 Depth=1
	s_or_b32 exec_lo, exec_lo, s7
	s_delay_alu instid0(SALU_CYCLE_1)
	s_and_not1_b32 vcc_lo, exec_lo, s46
	s_cbranch_vccnz .LBB7_151
.LBB7_158:                              ;   in Loop: Header=BB7_11 Depth=1
	s_mov_b32 s7, exec_lo
	v_readlane_b32 s0, v23, 3
	s_and_b32 s0, s7, s0
	s_delay_alu instid0(SALU_CYCLE_1)
	s_mov_b32 exec_lo, s0
	s_cbranch_execz .LBB7_163
; %bb.159:                              ;   in Loop: Header=BB7_11 Depth=1
	s_mul_i32 s18, s58, s9
	s_load_b32 s0, s[38:39], 0xc
	s_ashr_i32 s19, s18, 31
	s_add_co_i32 s1, s54, -1
	s_lshl_b64 s[18:19], s[18:19], 2
	s_cmp_eq_u32 s62, 0
	s_mov_b32 s14, 0
	s_cselect_b32 s6, s54, 0
	s_cselect_b32 s1, s1, 0
	s_lshl_b32 s50, s62, 1
	s_add_co_i32 s70, s1, s66
	s_add_co_i32 s1, s6, s50
	s_ashr_i32 s57, s56, 31
	s_add_co_i32 s1, s1, -1
	s_ashr_i32 s71, s70, 31
	v_mad_u32 v12, s9, s1, v0
	s_add_co_i32 s72, s50, -2
	s_mul_i32 s15, s6, s9
	s_lshl_b64 s[68:69], s[64:65], 2
	s_lshl_b64 s[48:49], s[56:57], 2
	;; [unrolled: 1-line block ×3, first 2 shown]
	s_ashr_i32 s73, s72, 31
	v_dual_mov_b32 v14, v0 :: v_dual_add_nc_u32 v13, s15, v0
	s_sub_nc_u64 s[48:49], s[48:49], s[60:61]
	s_add_nc_u64 s[68:69], s[68:69], s[70:71]
	s_lshl_b64 s[70:71], s[72:73], 2
	s_add_nc_u64 s[18:19], s[28:29], s[18:19]
	s_add_nc_u64 s[58:59], s[48:49], 20
	s_wait_kmcnt 0x0
	s_and_b32 s48, s0, 0xffff
	s_add_nc_u64 s[68:69], s[26:27], s[68:69]
	s_or_b64 s[70:71], s[70:71], 4
	s_mul_i32 s49, s9, s55
.LBB7_160:                              ;   Parent Loop BB7_11 Depth=1
                                        ; =>  This Loop Header: Depth=2
                                        ;       Child Loop BB7_161 Depth 3
	v_add_nc_u32_e32 v8, s15, v14
	s_mov_b32 s55, 0
	s_mov_b64 s[72:73], s[68:69]
	s_mov_b32 s57, s54
	global_load_b32 v8, v8, s[18:19] scale_offset
.LBB7_161:                              ;   Parent Loop BB7_11 Depth=1
                                        ;     Parent Loop BB7_160 Depth=2
                                        ; =>    This Inner Loop Header: Depth=3
	s_wait_xcnt 0x1
	v_add_nc_u32_e32 v10, s55, v12
	s_add_nc_u64 s[74:75], s[72:73], s[58:59]
	s_add_co_i32 s57, s57, -1
	s_clause 0x1
	global_load_b32 v16, v3, s[72:73] offset:16
	global_load_b32 v17, v3, s[74:75]
	global_load_b32 v9, v10, s[18:19] scale_offset
	s_wait_xcnt 0x2
	s_add_nc_u64 s[72:73], s[72:73], s[70:71]
	s_wait_loadcnt 0x0
	v_pk_mul_f32 v[18:19], v[8:9], v[16:17]
	v_mul_f32_e32 v8, v8, v17
	v_add_nc_u32_e32 v11, s55, v13
	s_add_co_i32 s55, s55, s49
	s_cmp_eq_u32 s57, 0
	s_delay_alu instid0(VALU_DEP_2)
	v_dual_sub_f32 v15, v18, v19 :: v_dual_fmac_f32 v8, v9, v16
	global_store_b32 v11, v15, s[18:19] scale_offset
	s_cbranch_scc0 .LBB7_161
; %bb.162:                              ;   in Loop: Header=BB7_160 Depth=2
	v_dual_add_nc_u32 v14, s48, v14 :: v_dual_add_nc_u32 v13, s48, v13
	s_wait_xcnt 0x0
	v_dual_ashrrev_i32 v11, 31, v10 :: v_dual_add_nc_u32 v12, s48, v12
	s_delay_alu instid0(VALU_DEP_2) | instskip(NEXT) | instid1(VALU_DEP_2)
	v_cmp_le_i32_e32 vcc_lo, s22, v14
	v_lshl_add_u64 v[10:11], v[10:11], 2, s[18:19]
	s_or_b32 s14, vcc_lo, s14
	global_store_b32 v[10:11], v8, off
	s_wait_xcnt 0x0
	s_and_not1_b32 exec_lo, exec_lo, s14
	s_cbranch_execnz .LBB7_160
.LBB7_163:                              ;   in Loop: Header=BB7_11 Depth=1
	s_or_b32 exec_lo, exec_lo, s7
	s_delay_alu instid0(SALU_CYCLE_1)
	s_and_not1_b32 vcc_lo, exec_lo, s47
	s_cbranch_vccnz .LBB7_10
.LBB7_164:                              ;   in Loop: Header=BB7_11 Depth=1
	s_mov_b32 s7, exec_lo
	v_readlane_b32 s0, v23, 4
	s_and_b32 s0, s7, s0
	s_delay_alu instid0(SALU_CYCLE_1)
	s_mov_b32 exec_lo, s0
	s_cbranch_execz .LBB7_9
; %bb.165:                              ;   in Loop: Header=BB7_11 Depth=1
	s_load_b32 s0, s[38:39], 0xc
	s_add_co_i32 s1, s54, -1
	s_cmp_eq_u32 s62, 0
	v_mov_b32_e32 v22, v0
	s_cselect_b32 s1, s1, 0
	s_cselect_b32 s58, s54, 0
	s_add_co_i32 s48, s1, s66
	s_ashr_i32 s57, s56, 31
	s_ashr_i32 s49, s48, 31
	s_lshl_b64 s[64:65], s[64:65], 2
	s_lshl_b32 s1, s62, 1
	s_lshl_b64 s[48:49], s[48:49], 2
	s_lshl_b64 s[56:57], s[56:57], 2
	s_add_nc_u64 s[48:49], s[64:65], s[48:49]
	s_add_co_i32 s66, s1, -2
	s_ashr_i32 s63, s62, 31
	s_add_nc_u64 s[56:57], s[48:49], s[56:57]
	s_ashr_i32 s67, s66, 31
	v_dual_add_nc_u32 v8, s58, v20 :: v_dual_mov_b32 v10, v20
	s_wait_kmcnt 0x0
	s_and_b32 s15, s0, 0xffff
	v_readlane_b32 s0, v23, 11
	v_readlane_b32 s1, v23, 12
	s_add_nc_u64 s[18:19], s[36:37], s[60:61]
	s_sub_nc_u64 s[56:57], s[56:57], s[60:61]
	s_lshl_b64 s[60:61], s[66:67], 2
	s_add_nc_u64 s[64:65], s[52:53], s[48:49]
	s_lshl_b64 s[48:49], s[62:63], 1
	s_ashr_i32 s59, s58, 31
	s_mov_b32 s14, 0
	s_add_nc_u64 s[56:57], s[0:1], s[56:57]
	s_or_b64 s[60:61], s[60:61], 4
	s_add_nc_u64 s[62:63], s[48:49], s[58:59]
	s_mul_i32 s48, s35, s15
	s_or_b64 s[66:67], s[66:67], 1
.LBB7_166:                              ;   Parent Loop BB7_11 Depth=1
                                        ; =>  This Loop Header: Depth=2
                                        ;       Child Loop BB7_167 Depth 3
	v_mad_u32 v9, v22, s35, s58
	v_ashrrev_i32_e32 v11, 31, v10
	s_mov_b64 s[68:69], 0
	s_mov_b32 s49, s54
	global_load_b32 v12, v9, s[18:19] scale_offset
	s_wait_xcnt 0x0
	v_ashrrev_i32_e32 v9, 31, v8
	v_add_nc_u64_e32 v[14:15], s[62:63], v[10:11]
	s_delay_alu instid0(VALU_DEP_2)
	v_lshl_add_u64 v[16:17], v[8:9], 2, s[18:19]
.LBB7_167:                              ;   Parent Loop BB7_11 Depth=1
                                        ;     Parent Loop BB7_166 Depth=2
                                        ; =>    This Inner Loop Header: Depth=3
	s_wait_xcnt 0x1
	s_delay_alu instid0(VALU_DEP_2)
	v_lshl_add_u64 v[18:19], v[14:15], 2, s[18:19]
	s_add_nc_u64 s[70:71], s[64:65], s[68:69]
	s_add_nc_u64 s[72:73], s[56:57], s[68:69]
	s_clause 0x1
	global_load_b32 v24, v3, s[70:71]
	global_load_b32 v25, v3, s[72:73]
	global_load_b32 v13, v[18:19], off offset:-4
	s_wait_xcnt 0x3
	v_add_nc_u64_e32 v[28:29], s[68:69], v[16:17]
	v_add_nc_u64_e32 v[14:15], s[66:67], v[14:15]
	s_add_co_i32 s49, s49, -1
	s_add_nc_u64 s[68:69], s[68:69], s[60:61]
	s_cmp_eq_u32 s49, 0
	s_wait_loadcnt 0x0
	v_pk_mul_f32 v[26:27], v[12:13], v[24:25]
	s_delay_alu instid0(VALU_DEP_1) | instskip(NEXT) | instid1(VALU_DEP_1)
	v_dual_mul_f32 v12, v12, v25 :: v_dual_sub_f32 v9, v26, v27
	v_fmac_f32_e32 v12, v13, v24
	global_store_b32 v[28:29], v9, off
	s_cbranch_scc0 .LBB7_167
; %bb.168:                              ;   in Loop: Header=BB7_166 Depth=2
	v_dual_add_nc_u32 v22, s15, v22 :: v_dual_add_nc_u32 v8, s48, v8
	v_add_nc_u32_e32 v10, s48, v10
	global_store_b32 v[18:19], v12, off offset:-4
	v_cmp_le_i32_e32 vcc_lo, s23, v22
	s_or_b32 s14, vcc_lo, s14
	s_wait_xcnt 0x0
	s_and_not1_b32 exec_lo, exec_lo, s14
	s_cbranch_execnz .LBB7_166
	s_branch .LBB7_9
.LBB7_169:                              ;   in Loop: Header=BB7_11 Depth=1
	s_wait_xcnt 0x0
	v_mov_b32_e32 v11, s55
	v_xor_b32_e32 v15, 0x80000000, v13
	global_load_b32 v8, v11, s[80:81] offset:-4 scale_offset
	s_wait_loadcnt 0x0
	v_mul_f32_e32 v16, v12, v8
	v_mul_f32_e32 v8, v8, v15
	global_store_b32 v11, v16, s[80:81] offset:-4 scale_offset
	s_and_b32 s7, s20, s7
	s_delay_alu instid0(SALU_CYCLE_1)
	v_cndmask_b32_e64 v15, 0, 1, s7
	s_and_not1_b32 vcc_lo, exec_lo, s7
	s_cbranch_vccnz .LBB7_113
.LBB7_170:                              ;   in Loop: Header=BB7_11 Depth=1
	s_wait_xcnt 0x0
	v_mov_b32_e32 v11, s72
	s_clause 0x1
	global_store_b32 v3, v12, s[86:87] offset:12
	global_store_b32 v11, v13, s[86:87] offset:12 scale_offset
	s_xor_b32 s7, s48, -1
	s_delay_alu instid0(SALU_CYCLE_1) | instskip(NEXT) | instid1(SALU_CYCLE_1)
	s_or_b32 s15, s104, s7
	s_and_b32 vcc_lo, exec_lo, s15
	s_cbranch_vccz .LBB7_114
	s_branch .LBB7_115
.LBB7_171:
	s_endpgm
	.section	.rodata,"a",@progbits
	.p2align	6, 0x0
	.amdhsa_kernel _ZN9rocsolver6v33100L13bdsqr_computeILi256EffPfS2_S2_EEviiiiPT1_lS4_lT2_iilT3_iilT4_iiliS3_S3_S3_S3_PiS4_ilS8_
		.amdhsa_group_segment_fixed_size 1040
		.amdhsa_private_segment_fixed_size 0
		.amdhsa_kernarg_size 440
		.amdhsa_user_sgpr_count 2
		.amdhsa_user_sgpr_dispatch_ptr 0
		.amdhsa_user_sgpr_queue_ptr 0
		.amdhsa_user_sgpr_kernarg_segment_ptr 1
		.amdhsa_user_sgpr_dispatch_id 0
		.amdhsa_user_sgpr_kernarg_preload_length 0
		.amdhsa_user_sgpr_kernarg_preload_offset 0
		.amdhsa_user_sgpr_private_segment_size 0
		.amdhsa_wavefront_size32 1
		.amdhsa_uses_dynamic_stack 0
		.amdhsa_enable_private_segment 0
		.amdhsa_system_sgpr_workgroup_id_x 1
		.amdhsa_system_sgpr_workgroup_id_y 1
		.amdhsa_system_sgpr_workgroup_id_z 1
		.amdhsa_system_sgpr_workgroup_info 0
		.amdhsa_system_vgpr_workitem_id 0
		.amdhsa_next_free_vgpr 30
		.amdhsa_next_free_sgpr 105
		.amdhsa_named_barrier_count 0
		.amdhsa_reserve_vcc 1
		.amdhsa_float_round_mode_32 0
		.amdhsa_float_round_mode_16_64 0
		.amdhsa_float_denorm_mode_32 3
		.amdhsa_float_denorm_mode_16_64 3
		.amdhsa_fp16_overflow 0
		.amdhsa_memory_ordered 1
		.amdhsa_forward_progress 1
		.amdhsa_inst_pref_size 75
		.amdhsa_round_robin_scheduling 0
		.amdhsa_exception_fp_ieee_invalid_op 0
		.amdhsa_exception_fp_denorm_src 0
		.amdhsa_exception_fp_ieee_div_zero 0
		.amdhsa_exception_fp_ieee_overflow 0
		.amdhsa_exception_fp_ieee_underflow 0
		.amdhsa_exception_fp_ieee_inexact 0
		.amdhsa_exception_int_div_zero 0
	.end_amdhsa_kernel
	.section	.text._ZN9rocsolver6v33100L13bdsqr_computeILi256EffPfS2_S2_EEviiiiPT1_lS4_lT2_iilT3_iilT4_iiliS3_S3_S3_S3_PiS4_ilS8_,"axG",@progbits,_ZN9rocsolver6v33100L13bdsqr_computeILi256EffPfS2_S2_EEviiiiPT1_lS4_lT2_iilT3_iilT4_iiliS3_S3_S3_S3_PiS4_ilS8_,comdat
.Lfunc_end7:
	.size	_ZN9rocsolver6v33100L13bdsqr_computeILi256EffPfS2_S2_EEviiiiPT1_lS4_lT2_iilT3_iilT4_iiliS3_S3_S3_S3_PiS4_ilS8_, .Lfunc_end7-_ZN9rocsolver6v33100L13bdsqr_computeILi256EffPfS2_S2_EEviiiiPT1_lS4_lT2_iilT3_iilT4_iiliS3_S3_S3_S3_PiS4_ilS8_
                                        ; -- End function
	.set _ZN9rocsolver6v33100L13bdsqr_computeILi256EffPfS2_S2_EEviiiiPT1_lS4_lT2_iilT3_iilT4_iiliS3_S3_S3_S3_PiS4_ilS8_.num_vgpr, 30
	.set _ZN9rocsolver6v33100L13bdsqr_computeILi256EffPfS2_S2_EEviiiiPT1_lS4_lT2_iilT3_iilT4_iiliS3_S3_S3_S3_PiS4_ilS8_.num_agpr, 0
	.set _ZN9rocsolver6v33100L13bdsqr_computeILi256EffPfS2_S2_EEviiiiPT1_lS4_lT2_iilT3_iilT4_iiliS3_S3_S3_S3_PiS4_ilS8_.numbered_sgpr, 105
	.set _ZN9rocsolver6v33100L13bdsqr_computeILi256EffPfS2_S2_EEviiiiPT1_lS4_lT2_iilT3_iilT4_iiliS3_S3_S3_S3_PiS4_ilS8_.num_named_barrier, 0
	.set _ZN9rocsolver6v33100L13bdsqr_computeILi256EffPfS2_S2_EEviiiiPT1_lS4_lT2_iilT3_iilT4_iiliS3_S3_S3_S3_PiS4_ilS8_.private_seg_size, 0
	.set _ZN9rocsolver6v33100L13bdsqr_computeILi256EffPfS2_S2_EEviiiiPT1_lS4_lT2_iilT3_iilT4_iiliS3_S3_S3_S3_PiS4_ilS8_.uses_vcc, 1
	.set _ZN9rocsolver6v33100L13bdsqr_computeILi256EffPfS2_S2_EEviiiiPT1_lS4_lT2_iilT3_iilT4_iiliS3_S3_S3_S3_PiS4_ilS8_.uses_flat_scratch, 0
	.set _ZN9rocsolver6v33100L13bdsqr_computeILi256EffPfS2_S2_EEviiiiPT1_lS4_lT2_iilT3_iilT4_iiliS3_S3_S3_S3_PiS4_ilS8_.has_dyn_sized_stack, 0
	.set _ZN9rocsolver6v33100L13bdsqr_computeILi256EffPfS2_S2_EEviiiiPT1_lS4_lT2_iilT3_iilT4_iiliS3_S3_S3_S3_PiS4_ilS8_.has_recursion, 0
	.set _ZN9rocsolver6v33100L13bdsqr_computeILi256EffPfS2_S2_EEviiiiPT1_lS4_lT2_iilT3_iilT4_iiliS3_S3_S3_S3_PiS4_ilS8_.has_indirect_call, 0
	.section	.AMDGPU.csdata,"",@progbits
; Kernel info:
; codeLenInByte = 9532
; TotalNumSgprs: 107
; NumVgprs: 30
; ScratchSize: 0
; MemoryBound: 0
; FloatMode: 240
; IeeeMode: 1
; LDSByteSize: 1040 bytes/workgroup (compile time only)
; SGPRBlocks: 0
; VGPRBlocks: 1
; NumSGPRsForWavesPerEU: 107
; NumVGPRsForWavesPerEU: 30
; NamedBarCnt: 0
; Occupancy: 16
; WaveLimiterHint : 1
; COMPUTE_PGM_RSRC2:SCRATCH_EN: 0
; COMPUTE_PGM_RSRC2:USER_SGPR: 2
; COMPUTE_PGM_RSRC2:TRAP_HANDLER: 0
; COMPUTE_PGM_RSRC2:TGID_X_EN: 1
; COMPUTE_PGM_RSRC2:TGID_Y_EN: 1
; COMPUTE_PGM_RSRC2:TGID_Z_EN: 1
; COMPUTE_PGM_RSRC2:TIDIG_COMP_CNT: 0
	.section	.text._ZN9rocsolver6v33100L12bdsqr_rotateIffPfS2_S2_EEviiiiT1_iilT2_iilT3_iiliPiPT0_ilS6_,"axG",@progbits,_ZN9rocsolver6v33100L12bdsqr_rotateIffPfS2_S2_EEviiiiT1_iilT2_iilT3_iiliPiPT0_ilS6_,comdat
	.globl	_ZN9rocsolver6v33100L12bdsqr_rotateIffPfS2_S2_EEviiiiT1_iilT2_iilT3_iiliPiPT0_ilS6_ ; -- Begin function _ZN9rocsolver6v33100L12bdsqr_rotateIffPfS2_S2_EEviiiiT1_iilT2_iilT3_iiliPiPT0_ilS6_
	.p2align	8
	.type	_ZN9rocsolver6v33100L12bdsqr_rotateIffPfS2_S2_EEviiiiT1_iilT2_iilT3_iiliPiPT0_ilS6_,@function
_ZN9rocsolver6v33100L12bdsqr_rotateIffPfS2_S2_EEviiiiT1_iilT2_iilT3_iiliPiPT0_ilS6_: ; @_ZN9rocsolver6v33100L12bdsqr_rotateIffPfS2_S2_EEviiiiT1_iilT2_iilT3_iiliPiPT0_ilS6_
; %bb.0:
	s_load_b128 s[12:15], s[0:1], 0x78
	s_bfe_u32 s2, ttmp6, 0x40014
	s_lshr_b32 s3, ttmp7, 16
	s_add_co_i32 s2, s2, 1
	s_bfe_u32 s4, ttmp6, 0x40008
	s_mul_i32 s2, s3, s2
	s_getreg_b32 s26, hwreg(HW_REG_IB_STS2, 6, 4)
	s_add_co_i32 s4, s4, s2
	s_cmp_eq_u32 s26, 0
	s_mov_b32 s25, 0
	s_cselect_b32 s24, s3, s4
	s_wait_kmcnt 0x0
	s_load_b32 s2, s[14:15], s24 offset:0x8 scale_offset
	s_wait_kmcnt 0x0
	s_cmp_lg_u32 s2, 0
	s_cbranch_scc1 .LBB8_25
; %bb.1:
	s_load_b256 s[4:11], s[0:1], 0x10
	s_mov_b64 s[20:21], 0
	s_mov_b64 s[22:23], 0
	s_wait_kmcnt 0x0
	s_cmp_eq_u64 s[4:5], 0
	s_cbranch_scc1 .LBB8_3
; %bb.2:
	s_mul_u64 s[2:3], s[8:9], s[24:25]
	s_ashr_i32 s9, s6, 31
	s_lshl_b64 s[2:3], s[2:3], 2
	s_mov_b32 s8, s6
	s_add_nc_u64 s[2:3], s[4:5], s[2:3]
	s_lshl_b64 s[4:5], s[8:9], 2
	s_delay_alu instid0(SALU_CYCLE_1)
	s_add_nc_u64 s[22:23], s[2:3], s[4:5]
.LBB8_3:
	s_clause 0x1
	s_load_b64 s[2:3], s[0:1], 0x30
	s_load_b128 s[16:19], s[0:1], 0x38
	s_cmp_eq_u64 s[10:11], 0
	s_cbranch_scc1 .LBB8_5
; %bb.4:
	s_wait_kmcnt 0x0
	s_mul_u64 s[4:5], s[16:17], s[24:25]
	s_ashr_i32 s9, s2, 31
	s_lshl_b64 s[4:5], s[4:5], 2
	s_mov_b32 s8, s2
	s_add_nc_u64 s[4:5], s[10:11], s[4:5]
	s_lshl_b64 s[8:9], s[8:9], 2
	s_delay_alu instid0(SALU_CYCLE_1)
	s_add_nc_u64 s[20:21], s[4:5], s[8:9]
.LBB8_5:
	s_wait_kmcnt 0x0
	s_load_b64 s[16:17], s[0:1], 0x48
	s_cmp_eq_u64 s[18:19], 0
	s_mov_b64 s[4:5], 0
	s_cbranch_scc1 .LBB8_7
; %bb.6:
	s_load_b64 s[4:5], s[0:1], 0x50
	s_wait_kmcnt 0x0
	s_ashr_i32 s9, s16, 31
	s_mov_b32 s8, s16
	s_delay_alu instid0(SALU_CYCLE_1) | instskip(SKIP_1) | instid1(SALU_CYCLE_1)
	s_lshl_b64 s[8:9], s[8:9], 2
	s_mul_u64 s[4:5], s[4:5], s[24:25]
	s_lshl_b64 s[4:5], s[4:5], 2
	s_delay_alu instid0(SALU_CYCLE_1) | instskip(NEXT) | instid1(SALU_CYCLE_1)
	s_add_nc_u64 s[4:5], s[18:19], s[4:5]
	s_add_nc_u64 s[4:5], s[4:5], s[8:9]
.LBB8_7:
	s_load_b128 s[8:11], s[0:1], 0x60
	s_bfe_u32 s2, ttmp6, 0x40010
	s_and_b32 s6, ttmp7, 0xffff
	s_add_co_i32 s2, s2, 1
	s_bfe_u32 s14, ttmp6, 0x40004
	s_mul_i32 s2, s6, s2
	s_mul_u64 s[12:13], s[12:13], s[24:25]
	s_add_co_i32 s14, s14, s2
	s_cmp_eq_u32 s26, 0
	s_cselect_b32 s30, s6, s14
	s_lshl_b64 s[12:13], s[12:13], 2
	s_wait_kmcnt 0x0
	s_add_nc_u64 s[10:11], s[10:11], s[12:13]
	s_load_b32 s2, s[10:11], 0x8
	s_wait_kmcnt 0x0
	s_cvt_i32_f32 s31, s2
	s_delay_alu instid0(SALU_CYCLE_3)
	s_cmp_ge_i32 s30, s31
	s_cbranch_scc1 .LBB8_25
; %bb.8:
	s_clause 0x3
	s_load_b128 s[12:15], s[0:1], 0x0
	s_load_b32 s2, s[0:1], 0x94
	s_load_b32 s33, s[0:1], 0x58
	;; [unrolled: 1-line block ×3, first 2 shown]
	s_bfe_u32 s6, ttmp6, 0x4000c
	s_and_b32 s16, ttmp6, 15
	s_add_co_i32 s6, s6, 1
	s_wait_xcnt 0x0
	s_add_nc_u64 s[0:1], s[0:1], 0x88
	s_mul_i32 s6, ttmp9, s6
	s_load_b32 s35, s[0:1], 0x4
	s_add_co_i32 s16, s16, s6
	v_mov_b32_e32 v11, 0
	s_wait_kmcnt 0x0
	s_mul_i32 s12, s24, s12
	s_and_b32 s2, 0xffff, s2
	s_lshl_b32 s18, s12, 1
	s_delay_alu instid0(SALU_CYCLE_1) | instskip(NEXT) | instid1(SALU_CYCLE_1)
	s_ashr_i32 s19, s18, 31
	s_lshl_b64 s[18:19], s[18:19], 2
	s_cmp_eq_u32 s26, 0
	s_cselect_b32 s6, ttmp9, s16
	s_cmp_eq_u32 s13, 0
	v_mad_u32 v8, s6, s2, v0
	s_cselect_b32 s36, -1, 0
	s_cmp_lg_u64 s[22:23], 0
	s_cselect_b32 s1, -1, 0
	s_delay_alu instid0(VALU_DEP_1)
	v_cmp_gt_i32_e32 vcc_lo, s13, v8
	v_cmp_gt_i32_e64 s0, s14, v8
	v_mul_lo_u32 v9, v8, s7
	v_mul_lo_u32 v10, v8, s17
	s_add_nc_u64 s[12:13], s[10:11], 20
	s_and_b32 s37, vcc_lo, s1
	s_cmp_lg_u64 s[20:21], 0
	v_cmp_gt_i32_e32 vcc_lo, s15, v8
	s_cselect_b32 s1, -1, 0
	s_add_nc_u64 s[6:7], s[8:9], s[18:19]
	s_and_b32 s38, s0, s1
	s_cmp_lg_u64 s[4:5], 0
	s_add_nc_u64 s[8:9], s[10:11], 16
	s_cselect_b32 s0, -1, 0
	s_delay_alu instid0(SALU_CYCLE_1)
	s_and_b32 s39, vcc_lo, s0
	s_branch .LBB8_12
.LBB8_9:                                ;   in Loop: Header=BB8_12 Depth=1
	v_sub_nc_u64_e64 v[2:3], v[2:3], s[0:1]
	s_delay_alu instid0(VALU_DEP_1) | instskip(NEXT) | instid1(VALU_DEP_1)
	v_add_nc_u64_e32 v[2:3], s[4:5], v[2:3]
	v_add_nc_u64_e32 v[2:3], s[16:17], v[2:3]
	global_store_b32 v[2:3], v0, off
.LBB8_10:                               ;   in Loop: Header=BB8_12 Depth=1
	s_wait_xcnt 0x0
	s_or_b32 exec_lo, exec_lo, s26
.LBB8_11:                               ;   in Loop: Header=BB8_12 Depth=1
	s_add_co_i32 s30, s35, s30
	s_delay_alu instid0(SALU_CYCLE_1)
	s_cmp_lt_i32 s30, s31
	s_cbranch_scc0 .LBB8_25
.LBB8_12:                               ; =>This Loop Header: Depth=1
                                        ;     Child Loop BB8_16 Depth 2
                                        ;     Child Loop BB8_20 Depth 2
	;; [unrolled: 1-line block ×3, first 2 shown]
	s_lshl_b32 s0, s30, 2
	s_delay_alu instid0(SALU_CYCLE_1) | instskip(NEXT) | instid1(SALU_CYCLE_1)
	s_ashr_i32 s1, s0, 31
	s_lshl_b64 s[0:1], s[0:1], 2
	s_wait_xcnt 0x0
	s_add_nc_u64 s[14:15], s[6:7], s[0:1]
	s_load_b96 s[0:2], s[14:15], 0x0
	s_wait_kmcnt 0x0
	s_cmp_le_i32 s2, s1
	s_cbranch_scc1 .LBB8_11
; %bb.13:                               ;   in Loop: Header=BB8_12 Depth=1
	s_wait_xcnt 0x0
	s_load_b32 s14, s[14:15], 0xc
	s_wait_kmcnt 0x0
	s_cmp_lt_i32 s14, s33
	s_wait_xcnt 0x0
	s_cselect_b32 s14, -1, 0
	s_cmp_lg_u32 s0, 0
	s_cselect_b32 s15, -1, 0
	s_delay_alu instid0(SALU_CYCLE_1) | instskip(NEXT) | instid1(SALU_CYCLE_1)
	s_and_b32 s14, s14, s15
	s_and_not1_b32 vcc_lo, exec_lo, s14
	s_cbranch_vccnz .LBB8_11
; %bb.14:                               ;   in Loop: Header=BB8_12 Depth=1
	s_mul_i32 s16, s1, s34
	s_delay_alu instid0(SALU_CYCLE_1)
	s_ashr_i32 s17, s16, 31
	s_cmp_gt_i32 s0, 0
	s_cselect_b32 s40, -1, 0
	s_sub_co_i32 s14, s2, s1
	s_and_saveexec_b32 s15, s37
	s_cbranch_execz .LBB8_18
; %bb.15:                               ;   in Loop: Header=BB8_12 Depth=1
	s_and_b32 s18, s40, exec_lo
	s_cselect_b32 s18, s1, s2
	s_mov_b32 s24, s2
	v_add_nc_u32_e32 v4, s18, v9
	s_add_co_i32 s18, s14, -1
	s_and_b32 s19, s40, exec_lo
	s_cselect_b32 s18, 0, s18
	s_ashr_i32 s25, s2, 31
	v_add_nc_u32_e32 v2, s0, v4
	s_ashr_i32 s19, s18, 31
	s_lshl_b64 s[26:27], s[16:17], 2
	s_lshl_b64 s[18:19], s[18:19], 2
	;; [unrolled: 1-line block ×3, first 2 shown]
	v_ashrrev_i32_e32 v3, 31, v2
	global_load_b32 v0, v4, s[22:23] scale_offset
	v_ashrrev_i32_e32 v5, 31, v4
	s_add_nc_u64 s[28:29], s[18:19], s[26:27]
	s_ashr_i32 s19, s1, 31
	v_lshlrev_b64_e32 v[2:3], 2, v[2:3]
	s_mov_b32 s18, s1
	s_add_nc_u64 s[24:25], s[28:29], s[24:25]
	s_lshl_b64 s[18:19], s[18:19], 2
	s_wait_xcnt 0x0
	v_lshl_add_u64 v[4:5], v[4:5], 2, s[22:23]
	s_sub_nc_u64 s[18:19], s[24:25], s[18:19]
	s_ashr_i32 s25, s0, 31
	v_add_nc_u64_e32 v[6:7], s[22:23], v[2:3]
	s_mov_b32 s24, s0
	s_add_nc_u64 s[26:27], s[12:13], s[18:19]
	s_lshl_b64 s[18:19], s[24:25], 2
	s_add_nc_u64 s[28:29], s[8:9], s[28:29]
	s_mov_b64 s[24:25], 0
	s_mov_b32 s41, s14
.LBB8_16:                               ;   Parent Loop BB8_12 Depth=1
                                        ; =>  This Inner Loop Header: Depth=2
	s_wait_xcnt 0x0
	v_add_nc_u64_e32 v[12:13], s[24:25], v[6:7]
	s_add_nc_u64 s[42:43], s[28:29], s[24:25]
	s_add_nc_u64 s[44:45], s[26:27], s[24:25]
	v_add_nc_u64_e32 v[16:17], s[24:25], v[4:5]
	s_add_co_i32 s41, s41, -1
	s_clause 0x1
	global_load_b32 v14, v11, s[42:43]
	global_load_b32 v15, v11, s[44:45]
	global_load_b32 v1, v[12:13], off
	s_cmp_eq_u32 s41, 0
	s_add_nc_u64 s[24:25], s[24:25], s[18:19]
	s_wait_loadcnt 0x0
	s_wait_xcnt 0x0
	v_pk_mul_f32 v[12:13], v[0:1], v[14:15]
	v_mul_f32_e32 v0, v0, v15
	s_delay_alu instid0(VALU_DEP_1)
	v_dual_sub_f32 v12, v12, v13 :: v_dual_fmac_f32 v0, v1, v14
	global_store_b32 v[16:17], v12, off
	s_cbranch_scc0 .LBB8_16
; %bb.17:                               ;   in Loop: Header=BB8_12 Depth=1
	v_sub_nc_u64_e64 v[2:3], v[2:3], s[18:19]
	s_delay_alu instid0(VALU_DEP_1) | instskip(NEXT) | instid1(VALU_DEP_1)
	v_add_nc_u64_e32 v[2:3], s[22:23], v[2:3]
	v_add_nc_u64_e32 v[2:3], s[24:25], v[2:3]
	global_store_b32 v[2:3], v0, off
.LBB8_18:                               ;   in Loop: Header=BB8_12 Depth=1
	s_wait_xcnt 0x0
	s_or_b32 exec_lo, exec_lo, s15
	s_lshl_b32 s15, s14, 1
	s_delay_alu instid0(SALU_CYCLE_1)
	s_add_co_i32 s15, s15, 2
	s_and_b32 s18, s36, exec_lo
	s_cselect_b32 s28, 0, s15
	s_and_saveexec_b32 s29, s38
	s_cbranch_execz .LBB8_22
; %bb.19:                               ;   in Loop: Header=BB8_12 Depth=1
	s_and_b32 s15, s40, exec_lo
	s_cselect_b32 s44, s1, s2
	s_add_co_i32 s15, s14, -1
	s_mul_i32 s41, s44, s3
	s_and_b32 s18, s40, exec_lo
	v_dual_mov_b32 v3, v8 :: v_dual_add_nc_u32 v0, s41, v8
	s_cselect_b32 s18, 0, s15
	s_ashr_i32 s15, s14, 31
	s_add_co_i32 s18, s28, s18
	global_load_b32 v0, v0, s[20:21] scale_offset
	s_ashr_i32 s19, s18, 31
	s_lshl_b64 s[24:25], s[14:15], 2
	s_lshl_b64 s[26:27], s[16:17], 2
	;; [unrolled: 1-line block ×3, first 2 shown]
	s_add_nc_u64 s[18:19], s[24:25], 20
	s_add_nc_u64 s[24:25], s[26:27], s[42:43]
	s_ashr_i32 s27, s0, 31
	s_mov_b32 s26, s0
	s_add_co_i32 s44, s44, s0
	s_add_nc_u64 s[24:25], s[10:11], s[24:25]
	s_lshl_b64 s[26:27], s[26:27], 2
	s_mul_i32 s15, s3, s44
	s_mul_i32 s42, s3, s0
	s_mov_b32 s43, s14
.LBB8_20:                               ;   Parent Loop BB8_12 Depth=1
                                        ; =>  This Inner Loop Header: Depth=2
	s_wait_xcnt 0x1
	v_add_nc_u32_e32 v2, s15, v3
	s_add_nc_u64 s[44:45], s[24:25], s[18:19]
	s_add_co_i32 s43, s43, -1
	s_clause 0x1
	global_load_b32 v4, v11, s[24:25] offset:16
	global_load_b32 v5, v11, s[44:45]
	global_load_b32 v1, v2, s[20:21] scale_offset
	s_cmp_eq_u32 s43, 0
	s_wait_xcnt 0x2
	s_add_nc_u64 s[24:25], s[24:25], s[26:27]
	s_wait_loadcnt 0x0
	v_pk_mul_f32 v[6:7], v[0:1], v[4:5]
	v_dual_mul_f32 v0, v0, v5 :: v_dual_add_nc_u32 v5, s41, v3
	v_add_nc_u32_e32 v3, s42, v3
	s_delay_alu instid0(VALU_DEP_2)
	v_dual_sub_f32 v6, v6, v7 :: v_dual_fmac_f32 v0, v1, v4
	global_store_b32 v5, v6, s[20:21] scale_offset
	s_cbranch_scc0 .LBB8_20
; %bb.21:                               ;   in Loop: Header=BB8_12 Depth=1
	v_ashrrev_i32_e32 v3, 31, v2
	s_wait_xcnt 0x1
	s_delay_alu instid0(VALU_DEP_1)
	v_lshl_add_u64 v[2:3], v[2:3], 2, s[20:21]
	global_store_b32 v[2:3], v0, off
.LBB8_22:                               ;   in Loop: Header=BB8_12 Depth=1
	s_wait_xcnt 0x0
	s_or_b32 exec_lo, exec_lo, s29
	s_and_saveexec_b32 s26, s39
	s_cbranch_execz .LBB8_10
; %bb.23:                               ;   in Loop: Header=BB8_12 Depth=1
	s_and_b32 s15, s40, exec_lo
	s_cselect_b32 s1, s1, s2
	s_delay_alu instid0(SALU_CYCLE_1)
	v_add_nc_u32_e32 v4, s1, v10
	s_add_co_i32 s1, s14, -1
	s_and_b32 s2, s40, exec_lo
	s_cselect_b32 s1, 0, s1
	s_lshl_b64 s[16:17], s[16:17], 2
	global_load_b32 v0, v4, s[4:5] scale_offset
	v_dual_add_nc_u32 v2, s0, v4 :: v_dual_ashrrev_i32 v5, 31, v4
	s_add_co_i32 s18, s28, s1
	s_ashr_i32 s15, s14, 31
	s_ashr_i32 s19, s18, 31
	s_delay_alu instid0(VALU_DEP_1)
	v_ashrrev_i32_e32 v3, 31, v2
	s_lshl_b64 s[18:19], s[18:19], 2
	s_wait_xcnt 0x0
	v_lshl_add_u64 v[4:5], v[4:5], 2, s[4:5]
	s_add_nc_u64 s[16:17], s[16:17], s[18:19]
	s_lshl_b64 s[18:19], s[14:15], 2
	v_lshlrev_b64_e32 v[2:3], 2, v[2:3]
	s_add_nc_u64 s[18:19], s[16:17], s[18:19]
	s_ashr_i32 s1, s0, 31
	s_add_nc_u64 s[18:19], s[12:13], s[18:19]
	s_lshl_b64 s[0:1], s[0:1], 2
	s_add_nc_u64 s[24:25], s[8:9], s[16:17]
	s_mov_b64 s[16:17], 0
	v_add_nc_u64_e32 v[6:7], s[4:5], v[2:3]
.LBB8_24:                               ;   Parent Loop BB8_12 Depth=1
                                        ; =>  This Inner Loop Header: Depth=2
	s_wait_xcnt 0x0
	s_delay_alu instid0(VALU_DEP_1)
	v_add_nc_u64_e32 v[12:13], s[16:17], v[6:7]
	s_add_nc_u64 s[28:29], s[24:25], s[16:17]
	s_add_nc_u64 s[40:41], s[18:19], s[16:17]
	v_add_nc_u64_e32 v[16:17], s[16:17], v[4:5]
	s_add_co_i32 s14, s14, -1
	s_clause 0x1
	global_load_b32 v14, v11, s[28:29]
	global_load_b32 v15, v11, s[40:41]
	global_load_b32 v1, v[12:13], off
	s_cmp_eq_u32 s14, 0
	s_add_nc_u64 s[16:17], s[16:17], s[0:1]
	s_wait_loadcnt 0x0
	s_wait_xcnt 0x0
	v_pk_mul_f32 v[12:13], v[0:1], v[14:15]
	v_mul_f32_e32 v0, v0, v15
	s_delay_alu instid0(VALU_DEP_1)
	v_dual_sub_f32 v12, v12, v13 :: v_dual_fmac_f32 v0, v1, v14
	global_store_b32 v[16:17], v12, off
	s_cbranch_scc0 .LBB8_24
	s_branch .LBB8_9
.LBB8_25:
	s_endpgm
	.section	.rodata,"a",@progbits
	.p2align	6, 0x0
	.amdhsa_kernel _ZN9rocsolver6v33100L12bdsqr_rotateIffPfS2_S2_EEviiiiT1_iilT2_iilT3_iiliPiPT0_ilS6_
		.amdhsa_group_segment_fixed_size 0
		.amdhsa_private_segment_fixed_size 0
		.amdhsa_kernarg_size 392
		.amdhsa_user_sgpr_count 2
		.amdhsa_user_sgpr_dispatch_ptr 0
		.amdhsa_user_sgpr_queue_ptr 0
		.amdhsa_user_sgpr_kernarg_segment_ptr 1
		.amdhsa_user_sgpr_dispatch_id 0
		.amdhsa_user_sgpr_kernarg_preload_length 0
		.amdhsa_user_sgpr_kernarg_preload_offset 0
		.amdhsa_user_sgpr_private_segment_size 0
		.amdhsa_wavefront_size32 1
		.amdhsa_uses_dynamic_stack 0
		.amdhsa_enable_private_segment 0
		.amdhsa_system_sgpr_workgroup_id_x 1
		.amdhsa_system_sgpr_workgroup_id_y 1
		.amdhsa_system_sgpr_workgroup_id_z 1
		.amdhsa_system_sgpr_workgroup_info 0
		.amdhsa_system_vgpr_workitem_id 0
		.amdhsa_next_free_vgpr 18
		.amdhsa_next_free_sgpr 46
		.amdhsa_named_barrier_count 0
		.amdhsa_reserve_vcc 1
		.amdhsa_float_round_mode_32 0
		.amdhsa_float_round_mode_16_64 0
		.amdhsa_float_denorm_mode_32 3
		.amdhsa_float_denorm_mode_16_64 3
		.amdhsa_fp16_overflow 0
		.amdhsa_memory_ordered 1
		.amdhsa_forward_progress 1
		.amdhsa_inst_pref_size 14
		.amdhsa_round_robin_scheduling 0
		.amdhsa_exception_fp_ieee_invalid_op 0
		.amdhsa_exception_fp_denorm_src 0
		.amdhsa_exception_fp_ieee_div_zero 0
		.amdhsa_exception_fp_ieee_overflow 0
		.amdhsa_exception_fp_ieee_underflow 0
		.amdhsa_exception_fp_ieee_inexact 0
		.amdhsa_exception_int_div_zero 0
	.end_amdhsa_kernel
	.section	.text._ZN9rocsolver6v33100L12bdsqr_rotateIffPfS2_S2_EEviiiiT1_iilT2_iilT3_iiliPiPT0_ilS6_,"axG",@progbits,_ZN9rocsolver6v33100L12bdsqr_rotateIffPfS2_S2_EEviiiiT1_iilT2_iilT3_iiliPiPT0_ilS6_,comdat
.Lfunc_end8:
	.size	_ZN9rocsolver6v33100L12bdsqr_rotateIffPfS2_S2_EEviiiiT1_iilT2_iilT3_iiliPiPT0_ilS6_, .Lfunc_end8-_ZN9rocsolver6v33100L12bdsqr_rotateIffPfS2_S2_EEviiiiT1_iilT2_iilT3_iiliPiPT0_ilS6_
                                        ; -- End function
	.set _ZN9rocsolver6v33100L12bdsqr_rotateIffPfS2_S2_EEviiiiT1_iilT2_iilT3_iiliPiPT0_ilS6_.num_vgpr, 18
	.set _ZN9rocsolver6v33100L12bdsqr_rotateIffPfS2_S2_EEviiiiT1_iilT2_iilT3_iiliPiPT0_ilS6_.num_agpr, 0
	.set _ZN9rocsolver6v33100L12bdsqr_rotateIffPfS2_S2_EEviiiiT1_iilT2_iilT3_iiliPiPT0_ilS6_.numbered_sgpr, 46
	.set _ZN9rocsolver6v33100L12bdsqr_rotateIffPfS2_S2_EEviiiiT1_iilT2_iilT3_iiliPiPT0_ilS6_.num_named_barrier, 0
	.set _ZN9rocsolver6v33100L12bdsqr_rotateIffPfS2_S2_EEviiiiT1_iilT2_iilT3_iiliPiPT0_ilS6_.private_seg_size, 0
	.set _ZN9rocsolver6v33100L12bdsqr_rotateIffPfS2_S2_EEviiiiT1_iilT2_iilT3_iiliPiPT0_ilS6_.uses_vcc, 1
	.set _ZN9rocsolver6v33100L12bdsqr_rotateIffPfS2_S2_EEviiiiT1_iilT2_iilT3_iiliPiPT0_ilS6_.uses_flat_scratch, 0
	.set _ZN9rocsolver6v33100L12bdsqr_rotateIffPfS2_S2_EEviiiiT1_iilT2_iilT3_iiliPiPT0_ilS6_.has_dyn_sized_stack, 0
	.set _ZN9rocsolver6v33100L12bdsqr_rotateIffPfS2_S2_EEviiiiT1_iilT2_iilT3_iiliPiPT0_ilS6_.has_recursion, 0
	.set _ZN9rocsolver6v33100L12bdsqr_rotateIffPfS2_S2_EEviiiiT1_iilT2_iilT3_iiliPiPT0_ilS6_.has_indirect_call, 0
	.section	.AMDGPU.csdata,"",@progbits
; Kernel info:
; codeLenInByte = 1672
; TotalNumSgprs: 48
; NumVgprs: 18
; ScratchSize: 0
; MemoryBound: 0
; FloatMode: 240
; IeeeMode: 1
; LDSByteSize: 0 bytes/workgroup (compile time only)
; SGPRBlocks: 0
; VGPRBlocks: 1
; NumSGPRsForWavesPerEU: 48
; NumVGPRsForWavesPerEU: 18
; NamedBarCnt: 0
; Occupancy: 16
; WaveLimiterHint : 1
; COMPUTE_PGM_RSRC2:SCRATCH_EN: 0
; COMPUTE_PGM_RSRC2:USER_SGPR: 2
; COMPUTE_PGM_RSRC2:TRAP_HANDLER: 0
; COMPUTE_PGM_RSRC2:TGID_X_EN: 1
; COMPUTE_PGM_RSRC2:TGID_Y_EN: 1
; COMPUTE_PGM_RSRC2:TGID_Z_EN: 1
; COMPUTE_PGM_RSRC2:TIDIG_COMP_CNT: 0
	.section	.text._ZN9rocsolver6v33100L22bdsqr_update_endpointsIffEEviPT0_lPiS3_lS4_,"axG",@progbits,_ZN9rocsolver6v33100L22bdsqr_update_endpointsIffEEviPT0_lPiS3_lS4_,comdat
	.globl	_ZN9rocsolver6v33100L22bdsqr_update_endpointsIffEEviPT0_lPiS3_lS4_ ; -- Begin function _ZN9rocsolver6v33100L22bdsqr_update_endpointsIffEEviPT0_lPiS3_lS4_
	.p2align	8
	.type	_ZN9rocsolver6v33100L22bdsqr_update_endpointsIffEEviPT0_lPiS3_lS4_,@function
_ZN9rocsolver6v33100L22bdsqr_update_endpointsIffEEviPT0_lPiS3_lS4_: ; @_ZN9rocsolver6v33100L22bdsqr_update_endpointsIffEEviPT0_lPiS3_lS4_
; %bb.0:
	s_load_b128 s[12:15], s[0:1], 0x28
	s_bfe_u32 s2, ttmp6, 0x40014
	s_lshr_b32 s3, ttmp7, 16
	s_add_co_i32 s2, s2, 1
	s_bfe_u32 s5, ttmp6, 0x40008
	s_mul_i32 s4, s3, s2
	s_getreg_b32 s2, hwreg(HW_REG_IB_STS2, 6, 4)
	s_add_co_i32 s5, s5, s4
	s_cmp_eq_u32 s2, 0
	s_mov_b32 s17, 0
	s_cselect_b32 s16, s3, s5
	s_wait_kmcnt 0x0
	s_load_b32 s3, s[14:15], s16 offset:0x8 scale_offset
	s_wait_kmcnt 0x0
	s_cmp_lg_u32 s3, 0
	s_cbranch_scc1 .LBB9_28
; %bb.1:
	s_load_b256 s[4:11], s[0:1], 0x8
	s_bfe_u32 s3, ttmp6, 0x40010
	s_and_b32 s14, ttmp7, 0xffff
	s_add_co_i32 s3, s3, 1
	s_bfe_u32 s15, ttmp6, 0x40004
	s_mul_i32 s3, s14, s3
	s_delay_alu instid0(SALU_CYCLE_1)
	s_add_co_i32 s15, s15, s3
	s_cmp_eq_u32 s2, 0
	s_mul_u64 s[2:3], s[12:13], s[16:17]
	s_cselect_b32 s20, s14, s15
	s_lshl_b64 s[2:3], s[2:3], 2
	s_wait_kmcnt 0x0
	s_add_nc_u64 s[2:3], s[10:11], s[2:3]
	s_load_b64 s[10:11], s[2:3], 0x4
	s_wait_kmcnt 0x0
	s_cvt_i32_f32 s11, s11
	s_delay_alu instid0(SALU_CYCLE_3)
	s_cmp_ge_i32 s20, s11
	s_cbranch_scc1 .LBB9_28
; %bb.2:
	s_clause 0x1
	s_load_b32 s12, s[0:1], 0x0
	s_load_b32 s21, s[0:1], 0x3c
	s_wait_xcnt 0x0
	s_mul_u64 s[0:1], s[6:7], s[16:17]
	v_mov_b32_e32 v4, 0
	s_lshl_b64 s[0:1], s[0:1], 2
	s_cvt_f32_i32 s22, s11
	s_add_nc_u64 s[4:5], s[4:5], s[0:1]
	s_wait_kmcnt 0x0
	s_mul_i32 s6, s16, s12
	s_delay_alu instid0(SALU_CYCLE_1) | instskip(NEXT) | instid1(SALU_CYCLE_1)
	s_lshl_b32 s6, s6, 1
	s_ashr_i32 s7, s6, 31
	s_delay_alu instid0(SALU_CYCLE_1) | instskip(NEXT) | instid1(SALU_CYCLE_1)
	s_lshl_b64 s[6:7], s[6:7], 2
	s_add_nc_u64 s[6:7], s[8:9], s[6:7]
	s_add_nc_u64 s[8:9], s[4:5], -4
	s_branch .LBB9_4
.LBB9_3:                                ;   in Loop: Header=BB9_4 Depth=1
	s_wait_xcnt 0x0
	v_dual_mov_b32 v0, s23 :: v_dual_mov_b32 v1, s15
	s_add_co_i32 s20, s21, s20
	s_delay_alu instid0(SALU_CYCLE_1)
	s_cmp_lt_i32 s20, s11
	global_store_b64 v4, v[0:1], s[12:13] offset:4
	s_cbranch_scc0 .LBB9_28
.LBB9_4:                                ; =>This Loop Header: Depth=1
                                        ;     Child Loop BB9_9 Depth 2
                                        ;     Child Loop BB9_14 Depth 2
	;; [unrolled: 1-line block ×3, first 2 shown]
	s_lshl_b32 s0, s20, 2
	s_delay_alu instid0(SALU_CYCLE_1) | instskip(NEXT) | instid1(SALU_CYCLE_1)
	s_ashr_i32 s1, s0, 31
	s_lshl_b64 s[0:1], s[0:1], 2
	s_wait_xcnt 0x0
	s_add_nc_u64 s[12:13], s[6:7], s[0:1]
	global_load_b128 v[0:3], v4, s[12:13]
	s_wait_loadcnt 0x0
	v_cmp_eq_u32_e64 s0, 0, v0
	v_readfirstlane_b32 s16, v1
	v_readfirstlane_b32 s14, v2
	v_mov_b32_e32 v2, v3
	s_and_b32 vcc_lo, exec_lo, s0
	s_cbranch_vccnz .LBB9_6
; %bb.5:                                ;   in Loop: Header=BB9_4 Depth=1
	s_sub_co_i32 s1, s14, s16
	s_delay_alu instid0(SALU_CYCLE_1)
	v_add_nc_u32_e32 v2, s1, v3
	global_store_b32 v4, v2, s[12:13] offset:12
.LBB9_6:                                ;   in Loop: Header=BB9_4 Depth=1
	s_cmp_le_i32 s14, s16
	s_cbranch_scc1 .LBB9_16
; %bb.7:                                ;   in Loop: Header=BB9_4 Depth=1
	s_ashr_i32 s17, s16, 31
	s_delay_alu instid0(SALU_CYCLE_1) | instskip(NEXT) | instid1(SALU_CYCLE_1)
	s_lshl_b64 s[18:19], s[16:17], 2
	s_add_nc_u64 s[18:19], s[4:5], s[18:19]
	s_branch .LBB9_9
.LBB9_8:                                ;   in Loop: Header=BB9_9 Depth=2
	s_add_co_i32 s16, s16, 1
	global_store_b32 v4, v4, s[18:19]
	s_cmp_ge_i32 s16, s14
	s_wait_xcnt 0x0
	s_add_nc_u64 s[18:19], s[18:19], 4
	s_cselect_b32 s1, -1, 0
	s_mov_b32 s23, s14
	s_and_not1_b32 vcc_lo, exec_lo, s1
	s_cbranch_vccz .LBB9_11
.LBB9_9:                                ;   Parent Loop BB9_4 Depth=1
                                        ; =>  This Inner Loop Header: Depth=2
	global_load_b32 v0, v4, s[18:19]
	s_mov_b32 s1, -1
	s_wait_loadcnt 0x0
	v_and_b32_e32 v0, 0x7fffffff, v0
	s_delay_alu instid0(VALU_DEP_1)
	v_cmp_ngt_f32_e32 vcc_lo, s10, v0
	s_cbranch_vccz .LBB9_8
; %bb.10:                               ;   in Loop: Header=BB9_9 Depth=2
	s_mov_b32 s23, s16
                                        ; implicit-def: $sgpr16
                                        ; implicit-def: $sgpr18_sgpr19
	s_and_not1_b32 vcc_lo, exec_lo, s1
	s_cbranch_vccnz .LBB9_9
.LBB9_11:                               ;   in Loop: Header=BB9_4 Depth=1
	s_cmp_le_i32 s14, s23
	s_cbranch_scc1 .LBB9_17
.LBB9_12:                               ;   in Loop: Header=BB9_4 Depth=1
	s_ashr_i32 s15, s14, 31
	s_delay_alu instid0(SALU_CYCLE_1) | instskip(NEXT) | instid1(SALU_CYCLE_1)
	s_lshl_b64 s[16:17], s[14:15], 2
	s_add_nc_u64 s[16:17], s[8:9], s[16:17]
	s_branch .LBB9_14
.LBB9_13:                               ;   in Loop: Header=BB9_14 Depth=2
	s_add_co_i32 s14, s14, -1
	global_store_b32 v4, v4, s[16:17]
	s_cmp_le_i32 s14, s23
	s_wait_xcnt 0x0
	s_add_nc_u64 s[16:17], s[16:17], -4
	s_cselect_b32 s1, -1, 0
	s_mov_b32 s15, s23
	s_and_not1_b32 vcc_lo, exec_lo, s1
	s_cbranch_vccz .LBB9_18
.LBB9_14:                               ;   Parent Loop BB9_4 Depth=1
                                        ; =>  This Inner Loop Header: Depth=2
	global_load_b32 v0, v4, s[16:17]
	s_mov_b32 s1, -1
	s_wait_loadcnt 0x0
	v_and_b32_e32 v0, 0x7fffffff, v0
	s_delay_alu instid0(VALU_DEP_1)
	v_cmp_ngt_f32_e32 vcc_lo, s10, v0
	s_cbranch_vccz .LBB9_13
; %bb.15:                               ;   in Loop: Header=BB9_14 Depth=2
	s_mov_b32 s15, s14
                                        ; implicit-def: $sgpr14
                                        ; implicit-def: $sgpr16_sgpr17
	s_and_not1_b32 vcc_lo, exec_lo, s1
	s_cbranch_vccnz .LBB9_14
	s_branch .LBB9_18
.LBB9_16:                               ;   in Loop: Header=BB9_4 Depth=1
	s_mov_b32 s23, s16
	s_delay_alu instid0(SALU_CYCLE_1)
	s_cmp_le_i32 s14, s23
	s_cbranch_scc0 .LBB9_12
.LBB9_17:                               ;   in Loop: Header=BB9_4 Depth=1
	s_mov_b32 s15, s14
.LBB9_18:                               ;   in Loop: Header=BB9_4 Depth=1
	s_delay_alu instid0(SALU_CYCLE_1) | instskip(SKIP_1) | instid1(SALU_CYCLE_1)
	s_cmp_lt_i32 s23, s15
	s_cselect_b32 s1, -1, 0
	s_and_b32 s0, s0, s1
	s_delay_alu instid0(SALU_CYCLE_1)
	s_and_not1_b32 vcc_lo, exec_lo, s0
	s_mov_b32 s0, s23
	s_cbranch_vccz .LBB9_20
	s_branch .LBB9_3
.LBB9_19:                               ;   in Loop: Header=BB9_20 Depth=2
	s_mov_b32 s0, s1
	s_delay_alu instid0(SALU_CYCLE_1)
	s_cmp_lt_i32 s0, s15
	s_cbranch_scc0 .LBB9_3
.LBB9_20:                               ;   Parent Loop BB9_4 Depth=1
                                        ; =>  This Inner Loop Header: Depth=2
	s_wait_xcnt 0x0
	v_mov_b32_e32 v0, s0
	s_mov_b32 s14, -1
                                        ; implicit-def: $sgpr1
	global_load_b32 v0, v0, s[4:5] scale_offset
	s_wait_loadcnt 0x0
	s_wait_xcnt 0x0
	v_and_b32_e32 v0, 0x7fffffff, v0
	s_delay_alu instid0(VALU_DEP_1)
	v_cmp_gt_f32_e32 vcc_lo, s10, v0
	s_cbranch_vccnz .LBB9_22
; %bb.21:                               ;   in Loop: Header=BB9_20 Depth=2
	s_add_co_i32 s1, s0, 1
	s_mov_b32 s14, 0
.LBB9_22:                               ;   in Loop: Header=BB9_20 Depth=2
	s_delay_alu instid0(SALU_CYCLE_1)
	s_and_not1_b32 vcc_lo, exec_lo, s14
	s_cbranch_vccnz .LBB9_19
; %bb.23:                               ;   in Loop: Header=BB9_20 Depth=2
	s_ashr_i32 s1, s0, 31
	s_delay_alu instid0(SALU_CYCLE_1)
	s_lshl_b64 s[16:17], s[0:1], 2
	s_cmp_ge_i32 s23, s0
	s_add_nc_u64 s[16:17], s[4:5], s[16:17]
	global_store_b32 v4, v4, s[16:17]
	s_cbranch_scc1 .LBB9_27
; %bb.24:                               ;   in Loop: Header=BB9_20 Depth=2
	s_mov_b32 s14, exec_lo
                                        ; implicit-def: $vgpr1
	s_delay_alu instid0(SALU_CYCLE_1) | instskip(NEXT) | instid1(VALU_DEP_1)
	v_mbcnt_lo_u32_b32 v0, s14, 0
	v_cmp_eq_u32_e32 vcc_lo, 0, v0
	s_wait_xcnt 0x0
	s_and_saveexec_b32 s1, vcc_lo
	s_cbranch_execz .LBB9_26
; %bb.25:                               ;   in Loop: Header=BB9_20 Depth=2
	s_bcnt1_i32_b32 s14, s14
	s_delay_alu instid0(SALU_CYCLE_1)
	v_cvt_f32_ubyte0_e32 v1, s14
	global_atomic_add_f32 v1, v4, v1, s[2:3] offset:12 th:TH_ATOMIC_RETURN scope:SCOPE_DEV
.LBB9_26:                               ;   in Loop: Header=BB9_20 Depth=2
	s_wait_xcnt 0x0
	s_or_b32 exec_lo, exec_lo, s1
	s_wait_loadcnt 0x0
	v_readfirstlane_b32 s1, v1
	v_cvt_f32_ubyte0_e32 v0, v0
	s_delay_alu instid0(VALU_DEP_1) | instskip(NEXT) | instid1(VALU_DEP_1)
	v_dual_mov_b32 v1, s0 :: v_dual_add_f32 v0, s1, v0
	v_cndmask_b32_e64 v0, v0, s1, vcc_lo
	s_delay_alu instid0(VALU_DEP_1) | instskip(NEXT) | instid1(VALU_DEP_1)
	v_add_f32_e32 v0, s22, v0
	v_cvt_i32_f32_e32 v0, v0
	s_delay_alu instid0(VALU_DEP_1) | instskip(NEXT) | instid1(VALU_DEP_1)
	v_dual_lshlrev_b32 v6, 2, v0 :: v_dual_mov_b32 v0, s23
	v_ashrrev_i32_e32 v7, 31, v6
	s_delay_alu instid0(VALU_DEP_1)
	v_lshl_add_u64 v[6:7], v[6:7], 2, s[6:7]
	global_store_b96 v[6:7], v[0:2], off offset:4
.LBB9_27:                               ;   in Loop: Header=BB9_20 Depth=2
	s_add_co_i32 s0, s0, 1
	s_delay_alu instid0(SALU_CYCLE_1)
	s_mov_b32 s23, s0
	s_cmp_lt_i32 s0, s15
	s_cbranch_scc1 .LBB9_20
	s_branch .LBB9_3
.LBB9_28:
	s_endpgm
	.section	.rodata,"a",@progbits
	.p2align	6, 0x0
	.amdhsa_kernel _ZN9rocsolver6v33100L22bdsqr_update_endpointsIffEEviPT0_lPiS3_lS4_
		.amdhsa_group_segment_fixed_size 0
		.amdhsa_private_segment_fixed_size 0
		.amdhsa_kernarg_size 312
		.amdhsa_user_sgpr_count 2
		.amdhsa_user_sgpr_dispatch_ptr 0
		.amdhsa_user_sgpr_queue_ptr 0
		.amdhsa_user_sgpr_kernarg_segment_ptr 1
		.amdhsa_user_sgpr_dispatch_id 0
		.amdhsa_user_sgpr_kernarg_preload_length 0
		.amdhsa_user_sgpr_kernarg_preload_offset 0
		.amdhsa_user_sgpr_private_segment_size 0
		.amdhsa_wavefront_size32 1
		.amdhsa_uses_dynamic_stack 0
		.amdhsa_enable_private_segment 0
		.amdhsa_system_sgpr_workgroup_id_x 1
		.amdhsa_system_sgpr_workgroup_id_y 1
		.amdhsa_system_sgpr_workgroup_id_z 1
		.amdhsa_system_sgpr_workgroup_info 0
		.amdhsa_system_vgpr_workitem_id 0
		.amdhsa_next_free_vgpr 8
		.amdhsa_next_free_sgpr 24
		.amdhsa_named_barrier_count 0
		.amdhsa_reserve_vcc 1
		.amdhsa_float_round_mode_32 0
		.amdhsa_float_round_mode_16_64 0
		.amdhsa_float_denorm_mode_32 3
		.amdhsa_float_denorm_mode_16_64 3
		.amdhsa_fp16_overflow 0
		.amdhsa_memory_ordered 1
		.amdhsa_forward_progress 1
		.amdhsa_inst_pref_size 8
		.amdhsa_round_robin_scheduling 0
		.amdhsa_exception_fp_ieee_invalid_op 0
		.amdhsa_exception_fp_denorm_src 0
		.amdhsa_exception_fp_ieee_div_zero 0
		.amdhsa_exception_fp_ieee_overflow 0
		.amdhsa_exception_fp_ieee_underflow 0
		.amdhsa_exception_fp_ieee_inexact 0
		.amdhsa_exception_int_div_zero 0
	.end_amdhsa_kernel
	.section	.text._ZN9rocsolver6v33100L22bdsqr_update_endpointsIffEEviPT0_lPiS3_lS4_,"axG",@progbits,_ZN9rocsolver6v33100L22bdsqr_update_endpointsIffEEviPT0_lPiS3_lS4_,comdat
.Lfunc_end9:
	.size	_ZN9rocsolver6v33100L22bdsqr_update_endpointsIffEEviPT0_lPiS3_lS4_, .Lfunc_end9-_ZN9rocsolver6v33100L22bdsqr_update_endpointsIffEEviPT0_lPiS3_lS4_
                                        ; -- End function
	.set _ZN9rocsolver6v33100L22bdsqr_update_endpointsIffEEviPT0_lPiS3_lS4_.num_vgpr, 8
	.set _ZN9rocsolver6v33100L22bdsqr_update_endpointsIffEEviPT0_lPiS3_lS4_.num_agpr, 0
	.set _ZN9rocsolver6v33100L22bdsqr_update_endpointsIffEEviPT0_lPiS3_lS4_.numbered_sgpr, 24
	.set _ZN9rocsolver6v33100L22bdsqr_update_endpointsIffEEviPT0_lPiS3_lS4_.num_named_barrier, 0
	.set _ZN9rocsolver6v33100L22bdsqr_update_endpointsIffEEviPT0_lPiS3_lS4_.private_seg_size, 0
	.set _ZN9rocsolver6v33100L22bdsqr_update_endpointsIffEEviPT0_lPiS3_lS4_.uses_vcc, 1
	.set _ZN9rocsolver6v33100L22bdsqr_update_endpointsIffEEviPT0_lPiS3_lS4_.uses_flat_scratch, 0
	.set _ZN9rocsolver6v33100L22bdsqr_update_endpointsIffEEviPT0_lPiS3_lS4_.has_dyn_sized_stack, 0
	.set _ZN9rocsolver6v33100L22bdsqr_update_endpointsIffEEviPT0_lPiS3_lS4_.has_recursion, 0
	.set _ZN9rocsolver6v33100L22bdsqr_update_endpointsIffEEviPT0_lPiS3_lS4_.has_indirect_call, 0
	.section	.AMDGPU.csdata,"",@progbits
; Kernel info:
; codeLenInByte = 1008
; TotalNumSgprs: 26
; NumVgprs: 8
; ScratchSize: 0
; MemoryBound: 0
; FloatMode: 240
; IeeeMode: 1
; LDSByteSize: 0 bytes/workgroup (compile time only)
; SGPRBlocks: 0
; VGPRBlocks: 0
; NumSGPRsForWavesPerEU: 26
; NumVGPRsForWavesPerEU: 8
; NamedBarCnt: 0
; Occupancy: 16
; WaveLimiterHint : 1
; COMPUTE_PGM_RSRC2:SCRATCH_EN: 0
; COMPUTE_PGM_RSRC2:USER_SGPR: 2
; COMPUTE_PGM_RSRC2:TRAP_HANDLER: 0
; COMPUTE_PGM_RSRC2:TGID_X_EN: 1
; COMPUTE_PGM_RSRC2:TGID_Y_EN: 1
; COMPUTE_PGM_RSRC2:TGID_Z_EN: 1
; COMPUTE_PGM_RSRC2:TIDIG_COMP_CNT: 0
	.section	.text._ZN9rocsolver6v33100L19bdsqr_chk_completedIffEEviiPiPT0_lS2_,"axG",@progbits,_ZN9rocsolver6v33100L19bdsqr_chk_completedIffEEviiPiPT0_lS2_,comdat
	.globl	_ZN9rocsolver6v33100L19bdsqr_chk_completedIffEEviiPiPT0_lS2_ ; -- Begin function _ZN9rocsolver6v33100L19bdsqr_chk_completedIffEEviiPiPT0_lS2_
	.p2align	8
	.type	_ZN9rocsolver6v33100L19bdsqr_chk_completedIffEEviiPiPT0_lS2_,@function
_ZN9rocsolver6v33100L19bdsqr_chk_completedIffEEviiPiPT0_lS2_: ; @_ZN9rocsolver6v33100L19bdsqr_chk_completedIffEEviiPiPT0_lS2_
; %bb.0:
	s_load_b256 s[4:11], s[0:1], 0x8
	s_bfe_u32 s2, ttmp6, 0x40010
	s_bfe_u32 s3, ttmp6, 0x40004
	s_add_co_i32 s2, s2, 1
	s_getreg_b32 s12, hwreg(HW_REG_IB_STS2, 6, 4)
	s_mul_i32 s2, ttmp7, s2
	s_delay_alu instid0(SALU_CYCLE_1) | instskip(SKIP_2) | instid1(SALU_CYCLE_1)
	s_add_co_i32 s3, s3, s2
	s_cmp_eq_u32 s12, 0
	s_cselect_b32 s12, ttmp7, s3
	s_ashr_i32 s13, s12, 31
	s_delay_alu instid0(SALU_CYCLE_1)
	s_lshl_b64 s[2:3], s[12:13], 2
	s_wait_kmcnt 0x0
	s_add_nc_u64 s[2:3], s[10:11], s[2:3]
	s_load_b32 s14, s[2:3], 0x8
	s_wait_kmcnt 0x0
	s_cmp_lg_u32 s14, 0
	s_cbranch_scc0 .LBB10_2
.LBB10_1:
	s_endpgm
.LBB10_2:
	s_mul_u64 s[8:9], s[8:9], s[12:13]
	s_delay_alu instid0(SALU_CYCLE_1) | instskip(NEXT) | instid1(SALU_CYCLE_1)
	s_lshl_b64 s[8:9], s[8:9], 2
	s_add_nc_u64 s[14:15], s[6:7], s[8:9]
	s_load_b64 s[6:7], s[14:15], 0x8
	s_load_b32 s8, s[10:11], 0x4
	s_wait_kmcnt 0x0
	s_add_f32 s6, s6, s7
	s_delay_alu instid0(SALU_CYCLE_3) | instskip(NEXT) | instid1(SALU_CYCLE_3)
	s_cvt_i32_f32 s6, s6
	s_cvt_f32_i32 s7, s6
	v_mov_b32_e32 v1, 0
	s_cmp_ge_i32 s8, s6
	s_delay_alu instid0(SALU_CYCLE_1)
	v_mov_b32_e32 v0, s7
	s_mov_b32 s7, 0
	global_store_b64 v1, v[0:1], s[14:15] offset:8
	s_cbranch_scc1 .LBB10_6
; %bb.3:
	v_mov_b32_e32 v3, s8
.LBB10_4:                               ; =>This Inner Loop Header: Depth=1
	v_mov_b32_e32 v2, s6
	s_wait_xcnt 0x0
	global_atomic_cmpswap_b32 v3, v1, v[2:3], s[10:11] offset:4 th:TH_ATOMIC_RETURN scope:SCOPE_DEV
	s_wait_loadcnt 0x0
	v_cmp_le_i32_e32 vcc_lo, s6, v3
	s_or_b32 s7, vcc_lo, s7
	s_wait_xcnt 0x0
	s_and_not1_b32 exec_lo, exec_lo, s7
	s_cbranch_execnz .LBB10_4
; %bb.5:
	s_or_b32 exec_lo, exec_lo, s7
.LBB10_6:
	s_cmp_lt_i32 s6, 1
	s_cbranch_scc1 .LBB10_14
; %bb.7:
	s_load_b64 s[0:1], s[0:1], 0x0
	v_mov_b32_e32 v0, 0
	s_wait_kmcnt 0x0
	s_mul_i32 s0, s12, s0
	s_delay_alu instid0(SALU_CYCLE_1) | instskip(NEXT) | instid1(SALU_CYCLE_1)
	s_lshl_b32 s8, s0, 1
	s_ashr_i32 s9, s8, 31
	s_delay_alu instid0(SALU_CYCLE_1) | instskip(NEXT) | instid1(SALU_CYCLE_1)
	s_lshl_b64 s[8:9], s[8:9], 2
	s_add_nc_u64 s[4:5], s[4:5], s[8:9]
	s_delay_alu instid0(SALU_CYCLE_1)
	s_add_nc_u64 s[4:5], s[4:5], 12
	s_branch .LBB10_9
.LBB10_8:                               ;   in Loop: Header=BB10_9 Depth=1
	s_and_not1_b32 vcc_lo, exec_lo, s7
	s_cbranch_vccz .LBB10_13
.LBB10_9:                               ; =>This Inner Loop Header: Depth=1
	global_load_b64 v[2:3], v0, s[4:5] offset:-8
	s_mov_b32 s7, -1
	s_wait_loadcnt 0x0
	v_cmp_ge_i32_e32 vcc_lo, v2, v3
	s_cbranch_vccz .LBB10_11
; %bb.10:                               ;   in Loop: Header=BB10_9 Depth=1
	s_mov_b32 s0, -1
	s_and_not1_b32 vcc_lo, exec_lo, s7
	s_mov_b32 s7, -1
	s_cbranch_vccnz .LBB10_8
	s_branch .LBB10_12
.LBB10_11:                              ;   in Loop: Header=BB10_9 Depth=1
	global_load_b32 v1, v0, s[4:5]
	s_wait_loadcnt 0x0
	v_cmp_le_i32_e64 s7, s1, v1
	s_mov_b32 s0, -1
	s_and_not1_b32 vcc_lo, exec_lo, s7
	s_mov_b32 s7, -1
	s_cbranch_vccnz .LBB10_8
.LBB10_12:                              ;   in Loop: Header=BB10_9 Depth=1
	s_add_co_i32 s6, s6, -1
	s_wait_xcnt 0x0
	s_add_nc_u64 s[4:5], s[4:5], 16
	s_cmp_eq_u32 s6, 0
	s_mov_b32 s0, 0
	s_cselect_b32 s7, -1, 0
	s_branch .LBB10_8
.LBB10_13:
	s_xor_b32 s0, s0, -1
	s_delay_alu instid0(SALU_CYCLE_1)
	s_and_b32 vcc_lo, exec_lo, s0
	s_cbranch_vccz .LBB10_1
	s_branch .LBB10_15
.LBB10_14:
	s_cbranch_execz .LBB10_1
.LBB10_15:
	s_mov_b32 s0, exec_lo
	s_wait_xcnt 0x0
	v_dual_mov_b32 v0, 0 :: v_dual_mov_b32 v2, 1
	v_mbcnt_lo_u32_b32 v1, s0, 0
	s_mov_b32 s1, exec_lo
	global_store_b32 v0, v2, s[2:3] offset:8
	s_wait_xcnt 0x0
	v_cmpx_eq_u32_e32 0, v1
	s_cbranch_execz .LBB10_1
; %bb.16:
	s_bcnt1_i32_b32 s0, s0
	s_delay_alu instid0(SALU_CYCLE_1)
	v_mov_b32_e32 v1, s0
	global_atomic_add_u32 v0, v1, s[10:11] scope:SCOPE_DEV
	s_endpgm
	.section	.rodata,"a",@progbits
	.p2align	6, 0x0
	.amdhsa_kernel _ZN9rocsolver6v33100L19bdsqr_chk_completedIffEEviiPiPT0_lS2_
		.amdhsa_group_segment_fixed_size 0
		.amdhsa_private_segment_fixed_size 0
		.amdhsa_kernarg_size 40
		.amdhsa_user_sgpr_count 2
		.amdhsa_user_sgpr_dispatch_ptr 0
		.amdhsa_user_sgpr_queue_ptr 0
		.amdhsa_user_sgpr_kernarg_segment_ptr 1
		.amdhsa_user_sgpr_dispatch_id 0
		.amdhsa_user_sgpr_kernarg_preload_length 0
		.amdhsa_user_sgpr_kernarg_preload_offset 0
		.amdhsa_user_sgpr_private_segment_size 0
		.amdhsa_wavefront_size32 1
		.amdhsa_uses_dynamic_stack 0
		.amdhsa_enable_private_segment 0
		.amdhsa_system_sgpr_workgroup_id_x 1
		.amdhsa_system_sgpr_workgroup_id_y 1
		.amdhsa_system_sgpr_workgroup_id_z 0
		.amdhsa_system_sgpr_workgroup_info 0
		.amdhsa_system_vgpr_workitem_id 0
		.amdhsa_next_free_vgpr 4
		.amdhsa_next_free_sgpr 16
		.amdhsa_named_barrier_count 0
		.amdhsa_reserve_vcc 1
		.amdhsa_float_round_mode_32 0
		.amdhsa_float_round_mode_16_64 0
		.amdhsa_float_denorm_mode_32 3
		.amdhsa_float_denorm_mode_16_64 3
		.amdhsa_fp16_overflow 0
		.amdhsa_memory_ordered 1
		.amdhsa_forward_progress 1
		.amdhsa_inst_pref_size 5
		.amdhsa_round_robin_scheduling 0
		.amdhsa_exception_fp_ieee_invalid_op 0
		.amdhsa_exception_fp_denorm_src 0
		.amdhsa_exception_fp_ieee_div_zero 0
		.amdhsa_exception_fp_ieee_overflow 0
		.amdhsa_exception_fp_ieee_underflow 0
		.amdhsa_exception_fp_ieee_inexact 0
		.amdhsa_exception_int_div_zero 0
	.end_amdhsa_kernel
	.section	.text._ZN9rocsolver6v33100L19bdsqr_chk_completedIffEEviiPiPT0_lS2_,"axG",@progbits,_ZN9rocsolver6v33100L19bdsqr_chk_completedIffEEviiPiPT0_lS2_,comdat
.Lfunc_end10:
	.size	_ZN9rocsolver6v33100L19bdsqr_chk_completedIffEEviiPiPT0_lS2_, .Lfunc_end10-_ZN9rocsolver6v33100L19bdsqr_chk_completedIffEEviiPiPT0_lS2_
                                        ; -- End function
	.set _ZN9rocsolver6v33100L19bdsqr_chk_completedIffEEviiPiPT0_lS2_.num_vgpr, 4
	.set _ZN9rocsolver6v33100L19bdsqr_chk_completedIffEEviiPiPT0_lS2_.num_agpr, 0
	.set _ZN9rocsolver6v33100L19bdsqr_chk_completedIffEEviiPiPT0_lS2_.numbered_sgpr, 16
	.set _ZN9rocsolver6v33100L19bdsqr_chk_completedIffEEviiPiPT0_lS2_.num_named_barrier, 0
	.set _ZN9rocsolver6v33100L19bdsqr_chk_completedIffEEviiPiPT0_lS2_.private_seg_size, 0
	.set _ZN9rocsolver6v33100L19bdsqr_chk_completedIffEEviiPiPT0_lS2_.uses_vcc, 1
	.set _ZN9rocsolver6v33100L19bdsqr_chk_completedIffEEviiPiPT0_lS2_.uses_flat_scratch, 0
	.set _ZN9rocsolver6v33100L19bdsqr_chk_completedIffEEviiPiPT0_lS2_.has_dyn_sized_stack, 0
	.set _ZN9rocsolver6v33100L19bdsqr_chk_completedIffEEviiPiPT0_lS2_.has_recursion, 0
	.set _ZN9rocsolver6v33100L19bdsqr_chk_completedIffEEviiPiPT0_lS2_.has_indirect_call, 0
	.section	.AMDGPU.csdata,"",@progbits
; Kernel info:
; codeLenInByte = 532
; TotalNumSgprs: 18
; NumVgprs: 4
; ScratchSize: 0
; MemoryBound: 0
; FloatMode: 240
; IeeeMode: 1
; LDSByteSize: 0 bytes/workgroup (compile time only)
; SGPRBlocks: 0
; VGPRBlocks: 0
; NumSGPRsForWavesPerEU: 18
; NumVGPRsForWavesPerEU: 4
; NamedBarCnt: 0
; Occupancy: 16
; WaveLimiterHint : 0
; COMPUTE_PGM_RSRC2:SCRATCH_EN: 0
; COMPUTE_PGM_RSRC2:USER_SGPR: 2
; COMPUTE_PGM_RSRC2:TRAP_HANDLER: 0
; COMPUTE_PGM_RSRC2:TGID_X_EN: 1
; COMPUTE_PGM_RSRC2:TGID_Y_EN: 1
; COMPUTE_PGM_RSRC2:TGID_Z_EN: 0
; COMPUTE_PGM_RSRC2:TIDIG_COMP_CNT: 0
	.text
	.p2align	2                               ; -- Begin function __ockl_fprintf_append_string_n
	.type	__ockl_fprintf_append_string_n,@function
__ockl_fprintf_append_string_n:         ; @__ockl_fprintf_append_string_n
; %bb.0:
	s_wait_loadcnt_dscnt 0x0
	s_wait_kmcnt 0x0
	v_or_b32_e32 v2, 2, v0
	v_cmp_eq_u32_e32 vcc_lo, 0, v6
	v_mbcnt_lo_u32_b32 v30, -1, 0
	s_get_pc_i64 s[0:1]
	s_add_nc_u64 s[0:1], s[0:1], .str.5@rel64+4
	s_mov_b32 s6, 0
	s_cmp_lg_u64 s[0:1], 0
	v_cndmask_b32_e32 v3, v2, v0, vcc_lo
	s_cbranch_scc0 .LBB11_113
; %bb.1:
	s_load_b64 s[2:3], s[8:9], 0x50
	s_delay_alu instid0(VALU_DEP_1) | instskip(SKIP_3) | instid1(VALU_DEP_4)
	v_dual_mov_b32 v7, 0 :: v_dual_bitop2_b32 v0, -3, v3 bitop3:0x40
	v_mov_b64_e32 v[8:9], 0x100000002
	v_mov_b64_e32 v[32:33], s[0:1]
	v_and_b32_e32 v2, 2, v3
	v_mov_b64_e32 v[10:11], v[0:1]
	s_mov_b32 s7, 0
	s_branch .LBB11_3
.LBB11_2:                               ;   in Loop: Header=BB11_3 Depth=1
	s_or_b32 exec_lo, exec_lo, s10
	v_sub_nc_u64_e32 v[4:5], v[4:5], v[34:35]
	v_add_nc_u64_e32 v[32:33], v[32:33], v[34:35]
	s_delay_alu instid0(VALU_DEP_2) | instskip(SKIP_1) | instid1(SALU_CYCLE_1)
	v_cmp_eq_u64_e32 vcc_lo, 0, v[4:5]
	s_or_b32 s7, vcc_lo, s7
	s_and_not1_b32 exec_lo, exec_lo, s7
	s_cbranch_execz .LBB11_85
.LBB11_3:                               ; =>This Loop Header: Depth=1
                                        ;     Child Loop BB11_6 Depth 2
                                        ;     Child Loop BB11_14 Depth 2
	;; [unrolled: 1-line block ×11, first 2 shown]
	v_min_u64 v[34:35], v[4:5], 56
	s_delay_alu instid0(VALU_DEP_3)
	v_add_nc_u64_e32 v[16:17], 8, v[32:33]
	s_mov_b32 s0, exec_lo
	v_cmpx_gt_u64_e32 8, v[4:5]
	s_xor_b32 s4, exec_lo, s0
	s_cbranch_execz .LBB11_9
; %bb.4:                                ;   in Loop: Header=BB11_3 Depth=1
	s_wait_loadcnt 0x0
	v_mov_b64_e32 v[12:13], 0
	s_mov_b32 s5, exec_lo
	v_cmpx_ne_u64_e32 0, v[4:5]
	s_cbranch_execz .LBB11_8
; %bb.5:                                ;   in Loop: Header=BB11_3 Depth=1
	v_mov_b64_e32 v[12:13], 0
	v_mov_b64_e32 v[14:15], v[32:33]
	v_lshlrev_b32_e32 v0, 3, v34
	s_mov_b64 s[0:1], 0
	s_mov_b32 s10, 0
.LBB11_6:                               ;   Parent Loop BB11_3 Depth=1
                                        ; =>  This Inner Loop Header: Depth=2
	global_load_u8 v6, v[14:15], off
	v_mov_b32_e32 v17, s6
	s_wait_xcnt 0x0
	v_add_nc_u64_e32 v[14:15], 1, v[14:15]
	s_wait_loadcnt 0x0
	v_and_b32_e32 v16, 0xffff, v6
	s_delay_alu instid0(VALU_DEP_1) | instskip(SKIP_1) | instid1(SALU_CYCLE_1)
	v_lshlrev_b64_e32 v[16:17], s0, v[16:17]
	s_add_nc_u64 s[0:1], s[0:1], 8
	v_cmp_eq_u32_e32 vcc_lo, s0, v0
	s_delay_alu instid0(VALU_DEP_2) | instskip(NEXT) | instid1(VALU_DEP_3)
	v_or_b32_e32 v13, v17, v13
	v_or_b32_e32 v12, v16, v12
	s_or_b32 s10, vcc_lo, s10
	s_delay_alu instid0(SALU_CYCLE_1)
	s_and_not1_b32 exec_lo, exec_lo, s10
	s_cbranch_execnz .LBB11_6
; %bb.7:                                ;   in Loop: Header=BB11_3 Depth=1
	s_or_b32 exec_lo, exec_lo, s10
.LBB11_8:                               ;   in Loop: Header=BB11_3 Depth=1
	s_delay_alu instid0(SALU_CYCLE_1)
	s_or_b32 exec_lo, exec_lo, s5
	v_mov_b64_e32 v[16:17], v[32:33]
.LBB11_9:                               ;   in Loop: Header=BB11_3 Depth=1
	s_or_saveexec_b32 s0, s4
	v_mov_b32_e32 v0, 0
	s_xor_b32 exec_lo, exec_lo, s0
	s_cbranch_execz .LBB11_11
; %bb.10:                               ;   in Loop: Header=BB11_3 Depth=1
	s_wait_loadcnt 0x0
	global_load_b64 v[12:13], v[32:33], off
	v_add_nc_u32_e32 v0, -8, v34
.LBB11_11:                              ;   in Loop: Header=BB11_3 Depth=1
	s_wait_xcnt 0x0
	s_or_b32 exec_lo, exec_lo, s0
	v_add_nc_u64_e32 v[18:19], 8, v[16:17]
                                        ; implicit-def: $vgpr14_vgpr15
	s_mov_b32 s0, exec_lo
	v_cmpx_gt_u32_e32 8, v0
	s_xor_b32 s10, exec_lo, s0
	s_cbranch_execz .LBB11_17
; %bb.12:                               ;   in Loop: Header=BB11_3 Depth=1
	v_mov_b64_e32 v[14:15], 0
	s_mov_b32 s11, exec_lo
	v_cmpx_ne_u32_e32 0, v0
	s_cbranch_execz .LBB11_16
; %bb.13:                               ;   in Loop: Header=BB11_3 Depth=1
	v_mov_b64_e32 v[14:15], 0
	s_mov_b64 s[0:1], 0
	s_mov_b32 s12, 0
	s_mov_b64 s[4:5], 0
.LBB11_14:                              ;   Parent Loop BB11_3 Depth=1
                                        ; =>  This Inner Loop Header: Depth=2
	s_delay_alu instid0(SALU_CYCLE_1) | instskip(SKIP_1) | instid1(SALU_CYCLE_1)
	v_add_nc_u64_e32 v[18:19], s[4:5], v[16:17]
	s_add_nc_u64 s[4:5], s[4:5], 1
	v_cmp_eq_u32_e32 vcc_lo, s4, v0
	global_load_u8 v6, v[18:19], off
	s_wait_xcnt 0x0
	v_mov_b32_e32 v19, s6
	s_or_b32 s12, vcc_lo, s12
	s_wait_loadcnt 0x0
	v_and_b32_e32 v18, 0xffff, v6
	s_delay_alu instid0(VALU_DEP_1) | instskip(SKIP_1) | instid1(VALU_DEP_1)
	v_lshlrev_b64_e32 v[18:19], s0, v[18:19]
	s_add_nc_u64 s[0:1], s[0:1], 8
	v_or_b32_e32 v15, v19, v15
	s_delay_alu instid0(VALU_DEP_2)
	v_or_b32_e32 v14, v18, v14
	s_and_not1_b32 exec_lo, exec_lo, s12
	s_cbranch_execnz .LBB11_14
; %bb.15:                               ;   in Loop: Header=BB11_3 Depth=1
	s_or_b32 exec_lo, exec_lo, s12
.LBB11_16:                              ;   in Loop: Header=BB11_3 Depth=1
	s_delay_alu instid0(SALU_CYCLE_1)
	s_or_b32 exec_lo, exec_lo, s11
	v_mov_b64_e32 v[18:19], v[16:17]
                                        ; implicit-def: $vgpr0
.LBB11_17:                              ;   in Loop: Header=BB11_3 Depth=1
	s_or_saveexec_b32 s0, s10
	v_mov_b32_e32 v6, 0
	s_xor_b32 exec_lo, exec_lo, s0
	s_cbranch_execz .LBB11_19
; %bb.18:                               ;   in Loop: Header=BB11_3 Depth=1
	global_load_b64 v[14:15], v[16:17], off
	v_add_nc_u32_e32 v6, -8, v0
.LBB11_19:                              ;   in Loop: Header=BB11_3 Depth=1
	s_wait_xcnt 0x0
	s_or_b32 exec_lo, exec_lo, s0
	v_add_nc_u64_e32 v[20:21], 8, v[18:19]
	s_mov_b32 s0, exec_lo
	v_cmpx_gt_u32_e32 8, v6
	s_xor_b32 s10, exec_lo, s0
	s_cbranch_execz .LBB11_25
; %bb.20:                               ;   in Loop: Header=BB11_3 Depth=1
	v_mov_b64_e32 v[16:17], 0
	s_mov_b32 s11, exec_lo
	v_cmpx_ne_u32_e32 0, v6
	s_cbranch_execz .LBB11_24
; %bb.21:                               ;   in Loop: Header=BB11_3 Depth=1
	v_mov_b64_e32 v[16:17], 0
	s_mov_b64 s[0:1], 0
	s_mov_b32 s12, 0
	s_mov_b64 s[4:5], 0
.LBB11_22:                              ;   Parent Loop BB11_3 Depth=1
                                        ; =>  This Inner Loop Header: Depth=2
	s_delay_alu instid0(SALU_CYCLE_1) | instskip(SKIP_1) | instid1(SALU_CYCLE_1)
	v_add_nc_u64_e32 v[20:21], s[4:5], v[18:19]
	s_add_nc_u64 s[4:5], s[4:5], 1
	v_cmp_eq_u32_e32 vcc_lo, s4, v6
	global_load_u8 v0, v[20:21], off
	s_wait_xcnt 0x0
	v_mov_b32_e32 v21, s6
	s_or_b32 s12, vcc_lo, s12
	s_wait_loadcnt 0x0
	v_and_b32_e32 v20, 0xffff, v0
	s_delay_alu instid0(VALU_DEP_1) | instskip(SKIP_1) | instid1(VALU_DEP_1)
	v_lshlrev_b64_e32 v[20:21], s0, v[20:21]
	s_add_nc_u64 s[0:1], s[0:1], 8
	v_or_b32_e32 v17, v21, v17
	s_delay_alu instid0(VALU_DEP_2)
	v_or_b32_e32 v16, v20, v16
	s_and_not1_b32 exec_lo, exec_lo, s12
	s_cbranch_execnz .LBB11_22
; %bb.23:                               ;   in Loop: Header=BB11_3 Depth=1
	s_or_b32 exec_lo, exec_lo, s12
.LBB11_24:                              ;   in Loop: Header=BB11_3 Depth=1
	s_delay_alu instid0(SALU_CYCLE_1)
	s_or_b32 exec_lo, exec_lo, s11
	v_mov_b64_e32 v[20:21], v[18:19]
                                        ; implicit-def: $vgpr6
.LBB11_25:                              ;   in Loop: Header=BB11_3 Depth=1
	s_or_saveexec_b32 s0, s10
	v_mov_b32_e32 v0, 0
	s_xor_b32 exec_lo, exec_lo, s0
	s_cbranch_execz .LBB11_27
; %bb.26:                               ;   in Loop: Header=BB11_3 Depth=1
	global_load_b64 v[16:17], v[18:19], off
	v_add_nc_u32_e32 v0, -8, v6
.LBB11_27:                              ;   in Loop: Header=BB11_3 Depth=1
	s_wait_xcnt 0x0
	s_or_b32 exec_lo, exec_lo, s0
	v_add_nc_u64_e32 v[22:23], 8, v[20:21]
                                        ; implicit-def: $vgpr18_vgpr19
	s_mov_b32 s0, exec_lo
	v_cmpx_gt_u32_e32 8, v0
	s_xor_b32 s10, exec_lo, s0
	s_cbranch_execz .LBB11_33
; %bb.28:                               ;   in Loop: Header=BB11_3 Depth=1
	v_mov_b64_e32 v[18:19], 0
	s_mov_b32 s11, exec_lo
	v_cmpx_ne_u32_e32 0, v0
	s_cbranch_execz .LBB11_32
; %bb.29:                               ;   in Loop: Header=BB11_3 Depth=1
	v_mov_b64_e32 v[18:19], 0
	s_mov_b64 s[0:1], 0
	s_mov_b32 s12, 0
	s_mov_b64 s[4:5], 0
.LBB11_30:                              ;   Parent Loop BB11_3 Depth=1
                                        ; =>  This Inner Loop Header: Depth=2
	s_delay_alu instid0(SALU_CYCLE_1) | instskip(SKIP_1) | instid1(SALU_CYCLE_1)
	v_add_nc_u64_e32 v[22:23], s[4:5], v[20:21]
	s_add_nc_u64 s[4:5], s[4:5], 1
	v_cmp_eq_u32_e32 vcc_lo, s4, v0
	global_load_u8 v6, v[22:23], off
	s_wait_xcnt 0x0
	v_mov_b32_e32 v23, s6
	s_or_b32 s12, vcc_lo, s12
	s_wait_loadcnt 0x0
	v_and_b32_e32 v22, 0xffff, v6
	s_delay_alu instid0(VALU_DEP_1) | instskip(SKIP_1) | instid1(VALU_DEP_1)
	v_lshlrev_b64_e32 v[22:23], s0, v[22:23]
	s_add_nc_u64 s[0:1], s[0:1], 8
	v_or_b32_e32 v19, v23, v19
	s_delay_alu instid0(VALU_DEP_2)
	v_or_b32_e32 v18, v22, v18
	s_and_not1_b32 exec_lo, exec_lo, s12
	s_cbranch_execnz .LBB11_30
; %bb.31:                               ;   in Loop: Header=BB11_3 Depth=1
	s_or_b32 exec_lo, exec_lo, s12
.LBB11_32:                              ;   in Loop: Header=BB11_3 Depth=1
	s_delay_alu instid0(SALU_CYCLE_1)
	s_or_b32 exec_lo, exec_lo, s11
	v_mov_b64_e32 v[22:23], v[20:21]
                                        ; implicit-def: $vgpr0
.LBB11_33:                              ;   in Loop: Header=BB11_3 Depth=1
	s_or_saveexec_b32 s0, s10
	v_mov_b32_e32 v6, 0
	s_xor_b32 exec_lo, exec_lo, s0
	s_cbranch_execz .LBB11_35
; %bb.34:                               ;   in Loop: Header=BB11_3 Depth=1
	global_load_b64 v[18:19], v[20:21], off
	v_add_nc_u32_e32 v6, -8, v0
.LBB11_35:                              ;   in Loop: Header=BB11_3 Depth=1
	s_wait_xcnt 0x0
	s_or_b32 exec_lo, exec_lo, s0
	v_add_nc_u64_e32 v[24:25], 8, v[22:23]
	s_mov_b32 s0, exec_lo
	v_cmpx_gt_u32_e32 8, v6
	s_xor_b32 s10, exec_lo, s0
	s_cbranch_execz .LBB11_41
; %bb.36:                               ;   in Loop: Header=BB11_3 Depth=1
	v_mov_b64_e32 v[20:21], 0
	s_mov_b32 s11, exec_lo
	v_cmpx_ne_u32_e32 0, v6
	s_cbranch_execz .LBB11_40
; %bb.37:                               ;   in Loop: Header=BB11_3 Depth=1
	v_mov_b64_e32 v[20:21], 0
	s_mov_b64 s[0:1], 0
	s_mov_b32 s12, 0
	s_mov_b64 s[4:5], 0
.LBB11_38:                              ;   Parent Loop BB11_3 Depth=1
                                        ; =>  This Inner Loop Header: Depth=2
	s_delay_alu instid0(SALU_CYCLE_1) | instskip(SKIP_1) | instid1(SALU_CYCLE_1)
	v_add_nc_u64_e32 v[24:25], s[4:5], v[22:23]
	s_add_nc_u64 s[4:5], s[4:5], 1
	v_cmp_eq_u32_e32 vcc_lo, s4, v6
	global_load_u8 v0, v[24:25], off
	s_wait_xcnt 0x0
	v_mov_b32_e32 v25, s6
	s_or_b32 s12, vcc_lo, s12
	s_wait_loadcnt 0x0
	v_and_b32_e32 v24, 0xffff, v0
	s_delay_alu instid0(VALU_DEP_1) | instskip(SKIP_1) | instid1(VALU_DEP_1)
	v_lshlrev_b64_e32 v[24:25], s0, v[24:25]
	s_add_nc_u64 s[0:1], s[0:1], 8
	v_or_b32_e32 v21, v25, v21
	s_delay_alu instid0(VALU_DEP_2)
	v_or_b32_e32 v20, v24, v20
	s_and_not1_b32 exec_lo, exec_lo, s12
	s_cbranch_execnz .LBB11_38
; %bb.39:                               ;   in Loop: Header=BB11_3 Depth=1
	s_or_b32 exec_lo, exec_lo, s12
.LBB11_40:                              ;   in Loop: Header=BB11_3 Depth=1
	s_delay_alu instid0(SALU_CYCLE_1)
	s_or_b32 exec_lo, exec_lo, s11
	v_mov_b64_e32 v[24:25], v[22:23]
                                        ; implicit-def: $vgpr6
.LBB11_41:                              ;   in Loop: Header=BB11_3 Depth=1
	s_or_saveexec_b32 s0, s10
	v_mov_b32_e32 v0, 0
	s_xor_b32 exec_lo, exec_lo, s0
	s_cbranch_execz .LBB11_43
; %bb.42:                               ;   in Loop: Header=BB11_3 Depth=1
	global_load_b64 v[20:21], v[22:23], off
	v_add_nc_u32_e32 v0, -8, v6
.LBB11_43:                              ;   in Loop: Header=BB11_3 Depth=1
	s_wait_xcnt 0x0
	s_or_b32 exec_lo, exec_lo, s0
	v_add_nc_u64_e32 v[26:27], 8, v[24:25]
                                        ; implicit-def: $vgpr22_vgpr23
	s_mov_b32 s0, exec_lo
	v_cmpx_gt_u32_e32 8, v0
	s_xor_b32 s10, exec_lo, s0
	s_cbranch_execz .LBB11_49
; %bb.44:                               ;   in Loop: Header=BB11_3 Depth=1
	v_mov_b64_e32 v[22:23], 0
	s_mov_b32 s11, exec_lo
	v_cmpx_ne_u32_e32 0, v0
	s_cbranch_execz .LBB11_48
; %bb.45:                               ;   in Loop: Header=BB11_3 Depth=1
	v_mov_b64_e32 v[22:23], 0
	s_mov_b64 s[0:1], 0
	s_mov_b32 s12, 0
	s_mov_b64 s[4:5], 0
.LBB11_46:                              ;   Parent Loop BB11_3 Depth=1
                                        ; =>  This Inner Loop Header: Depth=2
	s_delay_alu instid0(SALU_CYCLE_1) | instskip(SKIP_1) | instid1(SALU_CYCLE_1)
	v_add_nc_u64_e32 v[26:27], s[4:5], v[24:25]
	s_add_nc_u64 s[4:5], s[4:5], 1
	v_cmp_eq_u32_e32 vcc_lo, s4, v0
	global_load_u8 v6, v[26:27], off
	s_wait_xcnt 0x0
	v_mov_b32_e32 v27, s6
	s_or_b32 s12, vcc_lo, s12
	s_wait_loadcnt 0x0
	v_and_b32_e32 v26, 0xffff, v6
	s_delay_alu instid0(VALU_DEP_1) | instskip(SKIP_1) | instid1(VALU_DEP_1)
	v_lshlrev_b64_e32 v[26:27], s0, v[26:27]
	s_add_nc_u64 s[0:1], s[0:1], 8
	v_or_b32_e32 v23, v27, v23
	s_delay_alu instid0(VALU_DEP_2)
	v_or_b32_e32 v22, v26, v22
	s_and_not1_b32 exec_lo, exec_lo, s12
	s_cbranch_execnz .LBB11_46
; %bb.47:                               ;   in Loop: Header=BB11_3 Depth=1
	s_or_b32 exec_lo, exec_lo, s12
.LBB11_48:                              ;   in Loop: Header=BB11_3 Depth=1
	s_delay_alu instid0(SALU_CYCLE_1)
	s_or_b32 exec_lo, exec_lo, s11
	v_mov_b64_e32 v[26:27], v[24:25]
                                        ; implicit-def: $vgpr0
.LBB11_49:                              ;   in Loop: Header=BB11_3 Depth=1
	s_or_saveexec_b32 s0, s10
	v_mov_b32_e32 v6, 0
	s_xor_b32 exec_lo, exec_lo, s0
	s_cbranch_execz .LBB11_51
; %bb.50:                               ;   in Loop: Header=BB11_3 Depth=1
	global_load_b64 v[22:23], v[24:25], off
	v_add_nc_u32_e32 v6, -8, v0
.LBB11_51:                              ;   in Loop: Header=BB11_3 Depth=1
	s_wait_xcnt 0x0
	s_or_b32 exec_lo, exec_lo, s0
	s_delay_alu instid0(SALU_CYCLE_1) | instskip(NEXT) | instid1(VALU_DEP_1)
	s_mov_b32 s0, exec_lo
	v_cmpx_gt_u32_e32 8, v6
	s_xor_b32 s4, exec_lo, s0
	s_cbranch_execz .LBB11_57
; %bb.52:                               ;   in Loop: Header=BB11_3 Depth=1
	v_mov_b64_e32 v[24:25], 0
	s_mov_b32 s5, exec_lo
	v_cmpx_ne_u32_e32 0, v6
	s_cbranch_execz .LBB11_56
; %bb.53:                               ;   in Loop: Header=BB11_3 Depth=1
	v_mov_b64_e32 v[24:25], 0
	s_mov_b64 s[0:1], 0
	s_mov_b32 s10, 0
.LBB11_54:                              ;   Parent Loop BB11_3 Depth=1
                                        ; =>  This Inner Loop Header: Depth=2
	global_load_u8 v0, v[26:27], off
	v_dual_mov_b32 v29, s6 :: v_dual_add_nc_u32 v6, -1, v6
	s_wait_xcnt 0x0
	v_add_nc_u64_e32 v[26:27], 1, v[26:27]
	s_delay_alu instid0(VALU_DEP_2) | instskip(SKIP_3) | instid1(VALU_DEP_1)
	v_cmp_eq_u32_e32 vcc_lo, 0, v6
	s_or_b32 s10, vcc_lo, s10
	s_wait_loadcnt 0x0
	v_and_b32_e32 v28, 0xffff, v0
	v_lshlrev_b64_e32 v[28:29], s0, v[28:29]
	s_add_nc_u64 s[0:1], s[0:1], 8
	s_delay_alu instid0(VALU_DEP_1) | instskip(NEXT) | instid1(VALU_DEP_2)
	v_or_b32_e32 v25, v29, v25
	v_or_b32_e32 v24, v28, v24
	s_and_not1_b32 exec_lo, exec_lo, s10
	s_cbranch_execnz .LBB11_54
; %bb.55:                               ;   in Loop: Header=BB11_3 Depth=1
	s_or_b32 exec_lo, exec_lo, s10
.LBB11_56:                              ;   in Loop: Header=BB11_3 Depth=1
	s_delay_alu instid0(SALU_CYCLE_1)
	s_or_b32 exec_lo, exec_lo, s5
                                        ; implicit-def: $vgpr26_vgpr27
.LBB11_57:                              ;   in Loop: Header=BB11_3 Depth=1
	s_and_not1_saveexec_b32 s0, s4
	s_cbranch_execz .LBB11_59
; %bb.58:                               ;   in Loop: Header=BB11_3 Depth=1
	global_load_b64 v[24:25], v[26:27], off
.LBB11_59:                              ;   in Loop: Header=BB11_3 Depth=1
	s_wait_xcnt 0x0
	s_or_b32 exec_lo, exec_lo, s0
	v_readfirstlane_b32 s0, v30
	v_mov_b64_e32 v[36:37], 0
	s_delay_alu instid0(VALU_DEP_2)
	v_cmp_eq_u32_e64 s0, s0, v30
	s_and_saveexec_b32 s1, s0
	s_cbranch_execz .LBB11_65
; %bb.60:                               ;   in Loop: Header=BB11_3 Depth=1
	s_wait_kmcnt 0x0
	global_load_b64 v[28:29], v7, s[2:3] offset:24 scope:SCOPE_SYS
	s_wait_loadcnt 0x0
	global_inv scope:SCOPE_SYS
	s_clause 0x1
	global_load_b64 v[26:27], v7, s[2:3] offset:40
	global_load_b64 v[36:37], v7, s[2:3]
	s_mov_b32 s4, exec_lo
	s_wait_loadcnt 0x1
	v_and_b32_e32 v26, v26, v28
	v_and_b32_e32 v27, v27, v29
	s_delay_alu instid0(VALU_DEP_1) | instskip(SKIP_1) | instid1(VALU_DEP_1)
	v_mul_u64_e32 v[26:27], 24, v[26:27]
	s_wait_loadcnt 0x0
	v_add_nc_u64_e32 v[26:27], v[36:37], v[26:27]
	global_load_b64 v[26:27], v[26:27], off scope:SCOPE_SYS
	s_wait_xcnt 0x0
	s_wait_loadcnt 0x0
	global_atomic_cmpswap_b64 v[36:37], v7, v[26:29], s[2:3] offset:24 th:TH_ATOMIC_RETURN scope:SCOPE_SYS
	s_wait_loadcnt 0x0
	global_inv scope:SCOPE_SYS
	s_wait_xcnt 0x0
	v_cmpx_ne_u64_e64 v[36:37], v[28:29]
	s_cbranch_execz .LBB11_64
; %bb.61:                               ;   in Loop: Header=BB11_3 Depth=1
	s_mov_b32 s5, 0
.LBB11_62:                              ;   Parent Loop BB11_3 Depth=1
                                        ; =>  This Inner Loop Header: Depth=2
	s_sleep 1
	s_clause 0x1
	global_load_b64 v[26:27], v7, s[2:3] offset:40
	global_load_b64 v[38:39], v7, s[2:3]
	v_mov_b64_e32 v[28:29], v[36:37]
	s_wait_loadcnt 0x1
	s_delay_alu instid0(VALU_DEP_1) | instskip(SKIP_1) | instid1(VALU_DEP_1)
	v_and_b32_e32 v0, v26, v28
	s_wait_loadcnt 0x0
	v_mad_nc_u64_u32 v[36:37], v0, 24, v[38:39]
	s_delay_alu instid0(VALU_DEP_3) | instskip(NEXT) | instid1(VALU_DEP_1)
	v_and_b32_e32 v0, v27, v29
	v_mad_u32 v37, v0, 24, v37
	global_load_b64 v[26:27], v[36:37], off scope:SCOPE_SYS
	s_wait_xcnt 0x0
	s_wait_loadcnt 0x0
	global_atomic_cmpswap_b64 v[36:37], v7, v[26:29], s[2:3] offset:24 th:TH_ATOMIC_RETURN scope:SCOPE_SYS
	s_wait_loadcnt 0x0
	global_inv scope:SCOPE_SYS
	v_cmp_eq_u64_e32 vcc_lo, v[36:37], v[28:29]
	s_or_b32 s5, vcc_lo, s5
	s_wait_xcnt 0x0
	s_and_not1_b32 exec_lo, exec_lo, s5
	s_cbranch_execnz .LBB11_62
; %bb.63:                               ;   in Loop: Header=BB11_3 Depth=1
	s_or_b32 exec_lo, exec_lo, s5
.LBB11_64:                              ;   in Loop: Header=BB11_3 Depth=1
	s_delay_alu instid0(SALU_CYCLE_1)
	s_or_b32 exec_lo, exec_lo, s4
.LBB11_65:                              ;   in Loop: Header=BB11_3 Depth=1
	s_delay_alu instid0(SALU_CYCLE_1)
	s_or_b32 exec_lo, exec_lo, s1
	s_wait_kmcnt 0x0
	s_clause 0x1
	global_load_b64 v[38:39], v7, s[2:3] offset:40
	global_load_b128 v[26:29], v7, s[2:3]
	v_readfirstlane_b32 s4, v36
	v_readfirstlane_b32 s5, v37
	s_mov_b32 s1, exec_lo
	s_wait_loadcnt 0x1
	v_and_b32_e32 v38, s4, v38
	v_and_b32_e32 v39, s5, v39
	s_delay_alu instid0(VALU_DEP_1) | instskip(SKIP_1) | instid1(VALU_DEP_1)
	v_mul_u64_e32 v[36:37], 24, v[38:39]
	s_wait_loadcnt 0x0
	v_add_nc_u64_e32 v[36:37], v[26:27], v[36:37]
	s_wait_xcnt 0x0
	s_and_saveexec_b32 s10, s0
	s_cbranch_execz .LBB11_67
; %bb.66:                               ;   in Loop: Header=BB11_3 Depth=1
	v_mov_b32_e32 v6, s1
	global_store_b128 v[36:37], v[6:9], off offset:8
.LBB11_67:                              ;   in Loop: Header=BB11_3 Depth=1
	s_wait_xcnt 0x0
	s_or_b32 exec_lo, exec_lo, s10
	v_cmp_gt_u64_e32 vcc_lo, 57, v[4:5]
	v_lshlrev_b64_e32 v[38:39], 12, v[38:39]
	v_and_b32_e32 v6, 0xffffff1f, v10
	v_lshl_add_u32 v10, v34, 2, 28
	v_cndmask_b32_e32 v0, 0, v2, vcc_lo
	s_delay_alu instid0(VALU_DEP_4) | instskip(NEXT) | instid1(VALU_DEP_2)
	v_add_nc_u64_e32 v[28:29], v[28:29], v[38:39]
	v_dual_lshlrev_b32 v6, 6, v30 :: v_dual_bitop2_b32 v0, v6, v0 bitop3:0x54
	s_delay_alu instid0(VALU_DEP_2) | instskip(NEXT) | instid1(VALU_DEP_3)
	v_readfirstlane_b32 s10, v28
	v_readfirstlane_b32 s11, v29
	s_delay_alu instid0(VALU_DEP_3)
	v_and_or_b32 v10, 0x1e0, v10, v0
	s_clause 0x3
	global_store_b128 v6, v[10:13], s[10:11]
	global_store_b128 v6, v[14:17], s[10:11] offset:16
	global_store_b128 v6, v[18:21], s[10:11] offset:32
	;; [unrolled: 1-line block ×3, first 2 shown]
	s_wait_xcnt 0x0
	s_and_saveexec_b32 s1, s0
	s_cbranch_execz .LBB11_75
; %bb.68:                               ;   in Loop: Header=BB11_3 Depth=1
	s_clause 0x1
	global_load_b64 v[18:19], v7, s[2:3] offset:32 scope:SCOPE_SYS
	global_load_b64 v[10:11], v7, s[2:3] offset:40
	s_mov_b32 s10, exec_lo
	v_dual_mov_b32 v16, s4 :: v_dual_mov_b32 v17, s5
	s_wait_loadcnt 0x0
	v_and_b32_e32 v11, s5, v11
	v_and_b32_e32 v10, s4, v10
	s_delay_alu instid0(VALU_DEP_1) | instskip(NEXT) | instid1(VALU_DEP_1)
	v_mul_u64_e32 v[10:11], 24, v[10:11]
	v_add_nc_u64_e32 v[14:15], v[26:27], v[10:11]
	global_store_b64 v[14:15], v[18:19], off
	global_wb scope:SCOPE_SYS
	s_wait_storecnt 0x0
	s_wait_xcnt 0x0
	global_atomic_cmpswap_b64 v[12:13], v7, v[16:19], s[2:3] offset:32 th:TH_ATOMIC_RETURN scope:SCOPE_SYS
	s_wait_loadcnt 0x0
	v_cmpx_ne_u64_e64 v[12:13], v[18:19]
	s_cbranch_execz .LBB11_71
; %bb.69:                               ;   in Loop: Header=BB11_3 Depth=1
	s_mov_b32 s11, 0
.LBB11_70:                              ;   Parent Loop BB11_3 Depth=1
                                        ; =>  This Inner Loop Header: Depth=2
	v_dual_mov_b32 v10, s4 :: v_dual_mov_b32 v11, s5
	s_sleep 1
	global_store_b64 v[14:15], v[12:13], off
	global_wb scope:SCOPE_SYS
	s_wait_storecnt 0x0
	s_wait_xcnt 0x0
	global_atomic_cmpswap_b64 v[10:11], v7, v[10:13], s[2:3] offset:32 th:TH_ATOMIC_RETURN scope:SCOPE_SYS
	s_wait_loadcnt 0x0
	v_cmp_eq_u64_e32 vcc_lo, v[10:11], v[12:13]
	v_mov_b64_e32 v[12:13], v[10:11]
	s_or_b32 s11, vcc_lo, s11
	s_delay_alu instid0(SALU_CYCLE_1)
	s_and_not1_b32 exec_lo, exec_lo, s11
	s_cbranch_execnz .LBB11_70
.LBB11_71:                              ;   in Loop: Header=BB11_3 Depth=1
	s_or_b32 exec_lo, exec_lo, s10
	global_load_b64 v[10:11], v7, s[2:3] offset:16
	s_mov_b32 s11, exec_lo
	s_mov_b32 s10, exec_lo
	v_mbcnt_lo_u32_b32 v0, s11, 0
	s_wait_xcnt 0x0
	s_delay_alu instid0(VALU_DEP_1)
	v_cmpx_eq_u32_e32 0, v0
	s_cbranch_execz .LBB11_73
; %bb.72:                               ;   in Loop: Header=BB11_3 Depth=1
	s_bcnt1_i32_b32 s11, s11
	s_delay_alu instid0(SALU_CYCLE_1)
	v_dual_mov_b32 v13, v7 :: v_dual_mov_b32 v12, s11
	global_wb scope:SCOPE_SYS
	s_wait_loadcnt 0x0
	s_wait_storecnt 0x0
	global_atomic_add_u64 v[10:11], v[12:13], off offset:8 scope:SCOPE_SYS
.LBB11_73:                              ;   in Loop: Header=BB11_3 Depth=1
	s_wait_xcnt 0x0
	s_or_b32 exec_lo, exec_lo, s10
	s_wait_loadcnt 0x0
	global_load_b64 v[12:13], v[10:11], off offset:16
	s_wait_loadcnt 0x0
	v_cmp_eq_u64_e32 vcc_lo, 0, v[12:13]
	s_cbranch_vccnz .LBB11_75
; %bb.74:                               ;   in Loop: Header=BB11_3 Depth=1
	global_load_b32 v10, v[10:11], off offset:24
	s_wait_xcnt 0x0
	v_mov_b32_e32 v11, v7
	s_wait_loadcnt 0x0
	v_readfirstlane_b32 s10, v10
	global_wb scope:SCOPE_SYS
	s_wait_storecnt 0x0
	global_store_b64 v[12:13], v[10:11], off scope:SCOPE_SYS
	s_and_b32 m0, s10, 0xffffff
	s_sendmsg sendmsg(MSG_INTERRUPT)
.LBB11_75:                              ;   in Loop: Header=BB11_3 Depth=1
	s_wait_xcnt 0x0
	s_or_b32 exec_lo, exec_lo, s1
	v_add_nc_u64_e32 v[10:11], v[28:29], v[6:7]
	s_branch .LBB11_79
.LBB11_76:                              ;   in Loop: Header=BB11_79 Depth=2
	s_wait_xcnt 0x0
	s_or_b32 exec_lo, exec_lo, s1
	s_delay_alu instid0(VALU_DEP_1)
	v_readfirstlane_b32 s1, v0
	s_cmp_eq_u32 s1, 0
	s_cbranch_scc1 .LBB11_78
; %bb.77:                               ;   in Loop: Header=BB11_79 Depth=2
	s_sleep 1
	s_cbranch_execnz .LBB11_79
	s_branch .LBB11_81
.LBB11_78:                              ;   in Loop: Header=BB11_3 Depth=1
	s_branch .LBB11_81
.LBB11_79:                              ;   Parent Loop BB11_3 Depth=1
                                        ; =>  This Inner Loop Header: Depth=2
	v_mov_b32_e32 v0, 1
	s_and_saveexec_b32 s1, s0
	s_cbranch_execz .LBB11_76
; %bb.80:                               ;   in Loop: Header=BB11_79 Depth=2
	global_load_b32 v0, v[36:37], off offset:20 scope:SCOPE_SYS
	s_wait_loadcnt 0x0
	global_inv scope:SCOPE_SYS
	v_and_b32_e32 v0, 1, v0
	s_branch .LBB11_76
.LBB11_81:                              ;   in Loop: Header=BB11_3 Depth=1
	global_load_b128 v[10:13], v[10:11], off
	s_wait_xcnt 0x0
	s_and_saveexec_b32 s10, s0
	s_cbranch_execz .LBB11_2
; %bb.82:                               ;   in Loop: Header=BB11_3 Depth=1
	s_wait_loadcnt 0x0
	s_clause 0x2
	global_load_b64 v[12:13], v7, s[2:3] offset:40
	global_load_b64 v[20:21], v7, s[2:3] offset:24 scope:SCOPE_SYS
	global_load_b64 v[14:15], v7, s[2:3]
	s_wait_loadcnt 0x2
	v_readfirstlane_b32 s12, v12
	v_readfirstlane_b32 s13, v13
	s_add_nc_u64 s[0:1], s[12:13], 1
	s_delay_alu instid0(SALU_CYCLE_1) | instskip(NEXT) | instid1(SALU_CYCLE_1)
	s_add_nc_u64 s[4:5], s[0:1], s[4:5]
	s_cmp_eq_u64 s[4:5], 0
	s_cselect_b32 s1, s1, s5
	s_cselect_b32 s0, s0, s4
	s_delay_alu instid0(SALU_CYCLE_1) | instskip(SKIP_1) | instid1(SALU_CYCLE_1)
	v_dual_mov_b32 v19, s1 :: v_dual_mov_b32 v18, s0
	s_and_b64 s[4:5], s[0:1], s[12:13]
	s_mul_u64 s[4:5], s[4:5], 24
	s_wait_loadcnt 0x0
	v_add_nc_u64_e32 v[16:17], s[4:5], v[14:15]
	global_store_b64 v[16:17], v[20:21], off
	global_wb scope:SCOPE_SYS
	s_wait_storecnt 0x0
	s_wait_xcnt 0x0
	global_atomic_cmpswap_b64 v[14:15], v7, v[18:21], s[2:3] offset:24 th:TH_ATOMIC_RETURN scope:SCOPE_SYS
	s_wait_loadcnt 0x0
	v_cmp_ne_u64_e32 vcc_lo, v[14:15], v[20:21]
	s_and_b32 exec_lo, exec_lo, vcc_lo
	s_cbranch_execz .LBB11_2
; %bb.83:                               ;   in Loop: Header=BB11_3 Depth=1
	s_mov_b32 s4, 0
.LBB11_84:                              ;   Parent Loop BB11_3 Depth=1
                                        ; =>  This Inner Loop Header: Depth=2
	v_dual_mov_b32 v12, s0 :: v_dual_mov_b32 v13, s1
	s_sleep 1
	global_store_b64 v[16:17], v[14:15], off
	global_wb scope:SCOPE_SYS
	s_wait_storecnt 0x0
	s_wait_xcnt 0x0
	global_atomic_cmpswap_b64 v[12:13], v7, v[12:15], s[2:3] offset:24 th:TH_ATOMIC_RETURN scope:SCOPE_SYS
	s_wait_loadcnt 0x0
	v_cmp_eq_u64_e32 vcc_lo, v[12:13], v[14:15]
	v_mov_b64_e32 v[14:15], v[12:13]
	s_or_b32 s4, vcc_lo, s4
	s_delay_alu instid0(SALU_CYCLE_1)
	s_and_not1_b32 exec_lo, exec_lo, s4
	s_cbranch_execnz .LBB11_84
	s_branch .LBB11_2
.LBB11_85:
	s_or_b32 exec_lo, exec_lo, s7
	s_branch .LBB11_114
.LBB11_86:
	s_load_b64 s[2:3], s[8:9], 0x50
	v_readfirstlane_b32 s0, v30
	v_mov_b64_e32 v[8:9], 0
	s_delay_alu instid0(VALU_DEP_2)
	v_cmp_eq_u32_e64 s0, s0, v30
	s_and_saveexec_b32 s1, s0
	s_cbranch_execz .LBB11_92
; %bb.87:
	v_mov_b32_e32 v0, 0
	s_mov_b32 s4, exec_lo
	s_wait_kmcnt 0x0
	global_load_b64 v[6:7], v0, s[2:3] offset:24 scope:SCOPE_SYS
	s_wait_loadcnt 0x0
	global_inv scope:SCOPE_SYS
	s_clause 0x1
	global_load_b64 v[4:5], v0, s[2:3] offset:40
	global_load_b64 v[8:9], v0, s[2:3]
	s_wait_loadcnt 0x1
	v_and_b32_e32 v4, v4, v6
	v_and_b32_e32 v5, v5, v7
	s_delay_alu instid0(VALU_DEP_1) | instskip(SKIP_1) | instid1(VALU_DEP_1)
	v_mul_u64_e32 v[4:5], 24, v[4:5]
	s_wait_loadcnt 0x0
	v_add_nc_u64_e32 v[4:5], v[8:9], v[4:5]
	global_load_b64 v[4:5], v[4:5], off scope:SCOPE_SYS
	s_wait_xcnt 0x0
	s_wait_loadcnt 0x0
	global_atomic_cmpswap_b64 v[8:9], v0, v[4:7], s[2:3] offset:24 th:TH_ATOMIC_RETURN scope:SCOPE_SYS
	s_wait_loadcnt 0x0
	global_inv scope:SCOPE_SYS
	s_wait_xcnt 0x0
	v_cmpx_ne_u64_e64 v[8:9], v[6:7]
	s_cbranch_execz .LBB11_91
; %bb.88:
	s_mov_b32 s5, 0
.LBB11_89:                              ; =>This Inner Loop Header: Depth=1
	s_sleep 1
	s_clause 0x1
	global_load_b64 v[4:5], v0, s[2:3] offset:40
	global_load_b64 v[10:11], v0, s[2:3]
	v_mov_b64_e32 v[6:7], v[8:9]
	s_wait_loadcnt 0x1
	s_delay_alu instid0(VALU_DEP_1) | instskip(SKIP_1) | instid1(VALU_DEP_1)
	v_and_b32_e32 v2, v4, v6
	s_wait_loadcnt 0x0
	v_mad_nc_u64_u32 v[8:9], v2, 24, v[10:11]
	s_delay_alu instid0(VALU_DEP_3) | instskip(NEXT) | instid1(VALU_DEP_1)
	v_and_b32_e32 v2, v5, v7
	v_mad_u32 v9, v2, 24, v9
	global_load_b64 v[4:5], v[8:9], off scope:SCOPE_SYS
	s_wait_xcnt 0x0
	s_wait_loadcnt 0x0
	global_atomic_cmpswap_b64 v[8:9], v0, v[4:7], s[2:3] offset:24 th:TH_ATOMIC_RETURN scope:SCOPE_SYS
	s_wait_loadcnt 0x0
	global_inv scope:SCOPE_SYS
	v_cmp_eq_u64_e32 vcc_lo, v[8:9], v[6:7]
	s_or_b32 s5, vcc_lo, s5
	s_wait_xcnt 0x0
	s_and_not1_b32 exec_lo, exec_lo, s5
	s_cbranch_execnz .LBB11_89
; %bb.90:
	s_or_b32 exec_lo, exec_lo, s5
.LBB11_91:
	s_delay_alu instid0(SALU_CYCLE_1)
	s_or_b32 exec_lo, exec_lo, s4
.LBB11_92:
	s_delay_alu instid0(SALU_CYCLE_1)
	s_or_b32 exec_lo, exec_lo, s1
	v_readfirstlane_b32 s4, v8
	v_mov_b32_e32 v2, 0
	v_readfirstlane_b32 s5, v9
	s_mov_b32 s1, exec_lo
	s_wait_loadcnt 0x0
	s_wait_kmcnt 0x0
	s_clause 0x1
	global_load_b64 v[10:11], v2, s[2:3] offset:40
	global_load_b128 v[4:7], v2, s[2:3]
	s_wait_loadcnt 0x1
	v_and_b32_e32 v10, s4, v10
	v_and_b32_e32 v11, s5, v11
	s_delay_alu instid0(VALU_DEP_1) | instskip(SKIP_1) | instid1(VALU_DEP_1)
	v_mul_u64_e32 v[8:9], 24, v[10:11]
	s_wait_loadcnt 0x0
	v_add_nc_u64_e32 v[8:9], v[4:5], v[8:9]
	s_wait_xcnt 0x0
	s_and_saveexec_b32 s6, s0
	s_cbranch_execz .LBB11_94
; %bb.93:
	v_mov_b64_e32 v[14:15], 0x100000002
	v_dual_mov_b32 v12, s1 :: v_dual_mov_b32 v13, v2
	global_store_b128 v[8:9], v[12:15], off offset:8
.LBB11_94:
	s_wait_xcnt 0x0
	s_or_b32 exec_lo, exec_lo, s6
	v_lshlrev_b64_e32 v[10:11], 12, v[10:11]
	s_mov_b32 s8, 0
	v_and_or_b32 v0, 0xffffff1f, v3, 32
	s_mov_b32 s10, s8
	s_mov_b32 s11, s8
	;; [unrolled: 1-line block ×3, first 2 shown]
	v_dual_mov_b32 v3, v2 :: v_dual_lshlrev_b32 v14, 6, v30
	v_add_nc_u64_e32 v[6:7], v[6:7], v[10:11]
	v_mov_b64_e32 v[12:13], s[10:11]
	v_mov_b64_e32 v[10:11], s[8:9]
	s_delay_alu instid0(VALU_DEP_3) | instskip(NEXT) | instid1(VALU_DEP_4)
	v_readfirstlane_b32 s6, v6
	v_readfirstlane_b32 s7, v7
	s_clause 0x3
	global_store_b128 v14, v[0:3], s[6:7]
	global_store_b128 v14, v[10:13], s[6:7] offset:16
	global_store_b128 v14, v[10:13], s[6:7] offset:32
	;; [unrolled: 1-line block ×3, first 2 shown]
	s_wait_xcnt 0x0
	s_and_saveexec_b32 s1, s0
	s_cbranch_execz .LBB11_102
; %bb.95:
	v_dual_mov_b32 v6, 0 :: v_dual_mov_b32 v11, s5
	s_mov_b32 s6, exec_lo
	s_clause 0x1
	global_load_b64 v[12:13], v6, s[2:3] offset:32 scope:SCOPE_SYS
	global_load_b64 v[0:1], v6, s[2:3] offset:40
	s_wait_loadcnt 0x0
	v_dual_mov_b32 v10, s4 :: v_dual_bitop2_b32 v1, s5, v1 bitop3:0x40
	v_and_b32_e32 v0, s4, v0
	s_delay_alu instid0(VALU_DEP_1) | instskip(NEXT) | instid1(VALU_DEP_1)
	v_mul_u64_e32 v[0:1], 24, v[0:1]
	v_add_nc_u64_e32 v[4:5], v[4:5], v[0:1]
	global_store_b64 v[4:5], v[12:13], off
	global_wb scope:SCOPE_SYS
	s_wait_storecnt 0x0
	s_wait_xcnt 0x0
	global_atomic_cmpswap_b64 v[2:3], v6, v[10:13], s[2:3] offset:32 th:TH_ATOMIC_RETURN scope:SCOPE_SYS
	s_wait_loadcnt 0x0
	v_cmpx_ne_u64_e64 v[2:3], v[12:13]
	s_cbranch_execz .LBB11_98
; %bb.96:
	s_mov_b32 s7, 0
.LBB11_97:                              ; =>This Inner Loop Header: Depth=1
	v_dual_mov_b32 v0, s4 :: v_dual_mov_b32 v1, s5
	s_sleep 1
	global_store_b64 v[4:5], v[2:3], off
	global_wb scope:SCOPE_SYS
	s_wait_storecnt 0x0
	s_wait_xcnt 0x0
	global_atomic_cmpswap_b64 v[0:1], v6, v[0:3], s[2:3] offset:32 th:TH_ATOMIC_RETURN scope:SCOPE_SYS
	s_wait_loadcnt 0x0
	v_cmp_eq_u64_e32 vcc_lo, v[0:1], v[2:3]
	v_mov_b64_e32 v[2:3], v[0:1]
	s_or_b32 s7, vcc_lo, s7
	s_delay_alu instid0(SALU_CYCLE_1)
	s_and_not1_b32 exec_lo, exec_lo, s7
	s_cbranch_execnz .LBB11_97
.LBB11_98:
	s_or_b32 exec_lo, exec_lo, s6
	v_mov_b32_e32 v3, 0
	s_mov_b32 s7, exec_lo
	s_mov_b32 s6, exec_lo
	v_mbcnt_lo_u32_b32 v2, s7, 0
	global_load_b64 v[0:1], v3, s[2:3] offset:16
	s_wait_xcnt 0x0
	v_cmpx_eq_u32_e32 0, v2
	s_cbranch_execz .LBB11_100
; %bb.99:
	s_bcnt1_i32_b32 s7, s7
	s_delay_alu instid0(SALU_CYCLE_1)
	v_mov_b32_e32 v2, s7
	global_wb scope:SCOPE_SYS
	s_wait_loadcnt 0x0
	s_wait_storecnt 0x0
	global_atomic_add_u64 v[0:1], v[2:3], off offset:8 scope:SCOPE_SYS
.LBB11_100:
	s_wait_xcnt 0x0
	s_or_b32 exec_lo, exec_lo, s6
	s_wait_loadcnt 0x0
	global_load_b64 v[2:3], v[0:1], off offset:16
	s_wait_loadcnt 0x0
	v_cmp_eq_u64_e32 vcc_lo, 0, v[2:3]
	s_cbranch_vccnz .LBB11_102
; %bb.101:
	global_load_b32 v0, v[0:1], off offset:24
	s_wait_xcnt 0x0
	v_mov_b32_e32 v1, 0
	s_wait_loadcnt 0x0
	v_readfirstlane_b32 s6, v0
	global_wb scope:SCOPE_SYS
	s_wait_storecnt 0x0
	global_store_b64 v[2:3], v[0:1], off scope:SCOPE_SYS
	s_and_b32 m0, s6, 0xffffff
	s_sendmsg sendmsg(MSG_INTERRUPT)
.LBB11_102:
	s_wait_xcnt 0x0
	s_or_b32 exec_lo, exec_lo, s1
	s_branch .LBB11_106
.LBB11_103:                             ;   in Loop: Header=BB11_106 Depth=1
	s_wait_xcnt 0x0
	s_or_b32 exec_lo, exec_lo, s1
	s_delay_alu instid0(VALU_DEP_1)
	v_readfirstlane_b32 s1, v0
	s_cmp_eq_u32 s1, 0
	s_cbranch_scc1 .LBB11_105
; %bb.104:                              ;   in Loop: Header=BB11_106 Depth=1
	s_sleep 1
	s_cbranch_execnz .LBB11_106
	s_branch .LBB11_108
.LBB11_105:
	s_branch .LBB11_108
.LBB11_106:                             ; =>This Inner Loop Header: Depth=1
	v_mov_b32_e32 v0, 1
	s_and_saveexec_b32 s1, s0
	s_cbranch_execz .LBB11_103
; %bb.107:                              ;   in Loop: Header=BB11_106 Depth=1
	global_load_b32 v0, v[8:9], off offset:20 scope:SCOPE_SYS
	s_wait_loadcnt 0x0
	global_inv scope:SCOPE_SYS
	v_and_b32_e32 v0, 1, v0
	s_branch .LBB11_103
.LBB11_108:
	s_and_saveexec_b32 s6, s0
	s_cbranch_execz .LBB11_112
; %bb.109:
	v_mov_b32_e32 v6, 0
	s_clause 0x2
	global_load_b64 v[0:1], v6, s[2:3] offset:40
	global_load_b64 v[10:11], v6, s[2:3] offset:24 scope:SCOPE_SYS
	global_load_b64 v[2:3], v6, s[2:3]
	s_wait_loadcnt 0x2
	v_readfirstlane_b32 s8, v0
	v_readfirstlane_b32 s9, v1
	s_add_nc_u64 s[0:1], s[8:9], 1
	s_delay_alu instid0(SALU_CYCLE_1) | instskip(NEXT) | instid1(SALU_CYCLE_1)
	s_add_nc_u64 s[4:5], s[0:1], s[4:5]
	s_cmp_eq_u64 s[4:5], 0
	s_cselect_b32 s1, s1, s5
	s_cselect_b32 s0, s0, s4
	v_mov_b32_e32 v9, s1
	s_and_b64 s[4:5], s[0:1], s[8:9]
	v_mov_b32_e32 v8, s0
	s_mul_u64 s[4:5], s[4:5], 24
	s_wait_loadcnt 0x0
	v_add_nc_u64_e32 v[4:5], s[4:5], v[2:3]
	global_store_b64 v[4:5], v[10:11], off
	global_wb scope:SCOPE_SYS
	s_wait_storecnt 0x0
	s_wait_xcnt 0x0
	global_atomic_cmpswap_b64 v[2:3], v6, v[8:11], s[2:3] offset:24 th:TH_ATOMIC_RETURN scope:SCOPE_SYS
	s_wait_loadcnt 0x0
	v_cmp_ne_u64_e32 vcc_lo, v[2:3], v[10:11]
	s_and_b32 exec_lo, exec_lo, vcc_lo
	s_cbranch_execz .LBB11_112
; %bb.110:
	s_mov_b32 s4, 0
.LBB11_111:                             ; =>This Inner Loop Header: Depth=1
	v_dual_mov_b32 v0, s0 :: v_dual_mov_b32 v1, s1
	s_sleep 1
	global_store_b64 v[4:5], v[2:3], off
	global_wb scope:SCOPE_SYS
	s_wait_storecnt 0x0
	s_wait_xcnt 0x0
	global_atomic_cmpswap_b64 v[0:1], v6, v[0:3], s[2:3] offset:24 th:TH_ATOMIC_RETURN scope:SCOPE_SYS
	s_wait_loadcnt 0x0
	v_cmp_eq_u64_e32 vcc_lo, v[0:1], v[2:3]
	v_mov_b64_e32 v[2:3], v[0:1]
	s_or_b32 s4, vcc_lo, s4
	s_delay_alu instid0(SALU_CYCLE_1)
	s_and_not1_b32 exec_lo, exec_lo, s4
	s_cbranch_execnz .LBB11_111
.LBB11_112:
	s_or_b32 exec_lo, exec_lo, s6
	s_wait_loadcnt 0x0
	s_wait_kmcnt 0x0
	s_set_pc_i64 s[30:31]
.LBB11_113:
	s_cbranch_execnz .LBB11_86
.LBB11_114:
	s_wait_loadcnt 0x0
	s_wait_kmcnt 0x0
	s_set_pc_i64 s[30:31]
.Lfunc_end11:
	.size	__ockl_fprintf_append_string_n, .Lfunc_end11-__ockl_fprintf_append_string_n
                                        ; -- End function
	.set .L__ockl_fprintf_append_string_n.num_vgpr, 40
	.set .L__ockl_fprintf_append_string_n.num_agpr, 0
	.set .L__ockl_fprintf_append_string_n.numbered_sgpr, 32
	.set .L__ockl_fprintf_append_string_n.num_named_barrier, 0
	.set .L__ockl_fprintf_append_string_n.private_seg_size, 0
	.set .L__ockl_fprintf_append_string_n.uses_vcc, 1
	.set .L__ockl_fprintf_append_string_n.uses_flat_scratch, 0
	.set .L__ockl_fprintf_append_string_n.has_dyn_sized_stack, 0
	.set .L__ockl_fprintf_append_string_n.has_recursion, 0
	.set .L__ockl_fprintf_append_string_n.has_indirect_call, 0
	.section	.AMDGPU.csdata,"",@progbits
; Function info:
; codeLenInByte = 4324
; TotalNumSgprs: 34
; NumVgprs: 40
; ScratchSize: 0
; MemoryBound: 0
	.text
	.p2align	2                               ; -- Begin function __assert_fail
	.type	__assert_fail,@function
__assert_fail:                          ; @__assert_fail
; %bb.0:
	s_wait_loadcnt_dscnt 0x0
	s_wait_kmcnt 0x0
	s_mov_b32 s20, s33
	s_mov_b32 s33, s32
	s_or_saveexec_b32 s0, -1
	scratch_store_b32 off, v40, s33 offset:48 ; 4-byte Folded Spill
	s_wait_xcnt 0x0
	s_mov_b32 exec_lo, s0
	v_writelane_b32 v40, s30, 0
	s_add_co_i32 s32, s32, 64
	v_writelane_b32 v40, s31, 1
	v_mov_b32_e32 v8, 0
	s_get_pc_i64 s[0:1]
	s_add_nc_u64 s[0:1], s[0:1], __const.__assert_fail.fmt@rel64+35
	v_dual_mov_b32 v5, v1 :: v_dual_mov_b32 v4, v0
	s_get_pc_i64 s[10:11]
	s_add_nc_u64 s[10:11], s[10:11], __const.__assert_fail.fmt@rel64+20
	global_load_b128 v[0:3], v8, s[0:1]
	s_wait_xcnt 0x0
	s_get_pc_i64 s[0:1]
	s_add_nc_u64 s[0:1], s[0:1], __const.__assert_fail.fmt@rel64+4
	s_clause 0x1
	s_load_b128 s[4:7], s[0:1], 0x0
	s_load_b128 s[12:15], s[10:11], 0x0
	s_load_b64 s[2:3], s[8:9], 0x50
	v_mbcnt_lo_u32_b32 v48, -1, 0
	v_mov_b64_e32 v[6:7], 0
	s_wait_xcnt 0x0
	s_delay_alu instid0(VALU_DEP_2) | instskip(NEXT) | instid1(VALU_DEP_1)
	v_readfirstlane_b32 s0, v48
	v_cmp_eq_u32_e64 s0, s0, v48
	s_wait_kmcnt 0x0
	v_mov_b64_e32 v[12:13], s[6:7]
	v_mov_b64_e32 v[10:11], s[4:5]
	;; [unrolled: 1-line block ×4, first 2 shown]
	s_clause 0x1
	scratch_store_b128 off, v[10:13], s33
	scratch_store_b128 off, v[14:17], s33 offset:16
	s_wait_loadcnt 0x0
	scratch_store_b128 off, v[0:3], s33 offset:31
	s_wait_xcnt 0x0
	s_and_saveexec_b32 s1, s0
	s_cbranch_execz .LBB12_6
; %bb.1:
	global_load_b64 v[2:3], v8, s[2:3] offset:24 scope:SCOPE_SYS
	s_wait_loadcnt 0x0
	global_inv scope:SCOPE_SYS
	s_clause 0x1
	global_load_b64 v[0:1], v8, s[2:3] offset:40
	global_load_b64 v[6:7], v8, s[2:3]
	s_mov_b32 s4, exec_lo
	s_wait_loadcnt 0x1
	v_and_b32_e32 v0, v0, v2
	v_and_b32_e32 v1, v1, v3
	s_delay_alu instid0(VALU_DEP_1) | instskip(SKIP_1) | instid1(VALU_DEP_1)
	v_mul_u64_e32 v[0:1], 24, v[0:1]
	s_wait_loadcnt 0x0
	v_add_nc_u64_e32 v[0:1], v[6:7], v[0:1]
	global_load_b64 v[0:1], v[0:1], off scope:SCOPE_SYS
	s_wait_xcnt 0x0
	s_wait_loadcnt 0x0
	global_atomic_cmpswap_b64 v[6:7], v8, v[0:3], s[2:3] offset:24 th:TH_ATOMIC_RETURN scope:SCOPE_SYS
	s_wait_loadcnt 0x0
	global_inv scope:SCOPE_SYS
	s_wait_xcnt 0x0
	v_cmpx_ne_u64_e64 v[6:7], v[2:3]
	s_cbranch_execz .LBB12_5
; %bb.2:
	v_mov_b32_e32 v0, 0
	s_mov_b32 s5, 0
.LBB12_3:                               ; =>This Inner Loop Header: Depth=1
	s_sleep 1
	s_clause 0x1
	global_load_b64 v[2:3], v0, s[2:3] offset:40
	global_load_b64 v[10:11], v0, s[2:3]
	v_mov_b64_e32 v[12:13], v[6:7]
	s_wait_loadcnt 0x1
	s_delay_alu instid0(VALU_DEP_1) | instskip(SKIP_1) | instid1(VALU_DEP_1)
	v_and_b32_e32 v1, v2, v12
	s_wait_loadcnt 0x0
	v_mad_nc_u64_u32 v[6:7], v1, 24, v[10:11]
	s_delay_alu instid0(VALU_DEP_3) | instskip(NEXT) | instid1(VALU_DEP_1)
	v_and_b32_e32 v1, v3, v13
	v_mad_u32 v7, v1, 24, v7
	global_load_b64 v[10:11], v[6:7], off scope:SCOPE_SYS
	s_wait_xcnt 0x0
	s_wait_loadcnt 0x0
	global_atomic_cmpswap_b64 v[6:7], v0, v[10:13], s[2:3] offset:24 th:TH_ATOMIC_RETURN scope:SCOPE_SYS
	s_wait_loadcnt 0x0
	global_inv scope:SCOPE_SYS
	v_cmp_eq_u64_e32 vcc_lo, v[6:7], v[12:13]
	s_or_b32 s5, vcc_lo, s5
	s_wait_xcnt 0x0
	s_and_not1_b32 exec_lo, exec_lo, s5
	s_cbranch_execnz .LBB12_3
; %bb.4:
	s_or_b32 exec_lo, exec_lo, s5
.LBB12_5:
	s_delay_alu instid0(SALU_CYCLE_1)
	s_or_b32 exec_lo, exec_lo, s4
.LBB12_6:
	s_delay_alu instid0(SALU_CYCLE_1)
	s_or_b32 exec_lo, exec_lo, s1
	s_clause 0x1
	global_load_b64 v[10:11], v8, s[2:3] offset:40
	global_load_b128 v[0:3], v8, s[2:3]
	v_readfirstlane_b32 s4, v6
	v_readfirstlane_b32 s5, v7
	s_mov_b32 s1, exec_lo
	s_wait_loadcnt 0x1
	s_wait_xcnt 0x0
	v_and_b32_e32 v8, s4, v10
	v_and_b32_e32 v9, s5, v11
	s_delay_alu instid0(VALU_DEP_1) | instskip(SKIP_1) | instid1(VALU_DEP_1)
	v_mul_u64_e32 v[6:7], 24, v[8:9]
	s_wait_loadcnt 0x0
	v_add_nc_u64_e32 v[6:7], v[0:1], v[6:7]
	s_and_saveexec_b32 s6, s0
	s_cbranch_execz .LBB12_8
; %bb.7:
	v_mov_b64_e32 v[12:13], 0x100000002
	v_dual_mov_b32 v10, s1 :: v_dual_mov_b32 v11, 0
	global_store_b128 v[6:7], v[10:13], off offset:8
.LBB12_8:
	s_wait_xcnt 0x0
	s_or_b32 exec_lo, exec_lo, s6
	v_lshlrev_b64_e32 v[8:9], 12, v[8:9]
	s_mov_b32 s12, 0
	v_dual_mov_b32 v31, 0 :: v_dual_lshlrev_b32 v30, 6, v48
	s_mov_b32 s14, s12
	s_mov_b32 s15, s12
	;; [unrolled: 1-line block ×3, first 2 shown]
	s_delay_alu instid0(VALU_DEP_2)
	v_add_nc_u64_e32 v[8:9], v[2:3], v[8:9]
	v_mov_b64_e32 v[16:17], s[14:15]
	v_mov_b64_e32 v[14:15], s[12:13]
	v_dual_mov_b32 v10, 33 :: v_dual_mov_b32 v12, 1
	v_dual_mov_b32 v11, v31 :: v_dual_mov_b32 v13, v31
	v_readfirstlane_b32 s6, v8
	v_readfirstlane_b32 s7, v9
	s_clause 0x3
	global_store_b128 v30, v[10:13], s[6:7]
	global_store_b128 v30, v[14:17], s[6:7] offset:16
	global_store_b128 v30, v[14:17], s[6:7] offset:32
	;; [unrolled: 1-line block ×3, first 2 shown]
	s_wait_xcnt 0x0
	s_and_saveexec_b32 s1, s0
	s_cbranch_execz .LBB12_16
; %bb.9:
	s_clause 0x1
	global_load_b64 v[14:15], v31, s[2:3] offset:32 scope:SCOPE_SYS
	global_load_b64 v[2:3], v31, s[2:3] offset:40
	s_mov_b32 s6, exec_lo
	v_dual_mov_b32 v12, s4 :: v_dual_mov_b32 v13, s5
	s_wait_loadcnt 0x0
	v_and_b32_e32 v3, s5, v3
	v_and_b32_e32 v2, s4, v2
	s_delay_alu instid0(VALU_DEP_1) | instskip(NEXT) | instid1(VALU_DEP_1)
	v_mul_u64_e32 v[2:3], 24, v[2:3]
	v_add_nc_u64_e32 v[10:11], v[0:1], v[2:3]
	global_store_b64 v[10:11], v[14:15], off
	global_wb scope:SCOPE_SYS
	s_wait_storecnt 0x0
	s_wait_xcnt 0x0
	global_atomic_cmpswap_b64 v[2:3], v31, v[12:15], s[2:3] offset:32 th:TH_ATOMIC_RETURN scope:SCOPE_SYS
	s_wait_loadcnt 0x0
	v_cmpx_ne_u64_e64 v[2:3], v[14:15]
	s_cbranch_execz .LBB12_12
; %bb.10:
	v_mov_b32_e32 v12, 0
	s_mov_b32 s7, 0
.LBB12_11:                              ; =>This Inner Loop Header: Depth=1
	v_dual_mov_b32 v0, s4 :: v_dual_mov_b32 v1, s5
	s_sleep 1
	global_store_b64 v[10:11], v[2:3], off
	global_wb scope:SCOPE_SYS
	s_wait_storecnt 0x0
	s_wait_xcnt 0x0
	global_atomic_cmpswap_b64 v[0:1], v12, v[0:3], s[2:3] offset:32 th:TH_ATOMIC_RETURN scope:SCOPE_SYS
	s_wait_loadcnt 0x0
	v_cmp_eq_u64_e32 vcc_lo, v[0:1], v[2:3]
	v_mov_b64_e32 v[2:3], v[0:1]
	s_or_b32 s7, vcc_lo, s7
	s_delay_alu instid0(SALU_CYCLE_1)
	s_and_not1_b32 exec_lo, exec_lo, s7
	s_cbranch_execnz .LBB12_11
.LBB12_12:
	s_or_b32 exec_lo, exec_lo, s6
	v_mov_b32_e32 v3, 0
	s_mov_b32 s7, exec_lo
	s_mov_b32 s6, exec_lo
	v_mbcnt_lo_u32_b32 v2, s7, 0
	global_load_b64 v[0:1], v3, s[2:3] offset:16
	s_wait_xcnt 0x0
	v_cmpx_eq_u32_e32 0, v2
	s_cbranch_execz .LBB12_14
; %bb.13:
	s_bcnt1_i32_b32 s7, s7
	s_delay_alu instid0(SALU_CYCLE_1)
	v_mov_b32_e32 v2, s7
	global_wb scope:SCOPE_SYS
	s_wait_loadcnt 0x0
	s_wait_storecnt 0x0
	global_atomic_add_u64 v[0:1], v[2:3], off offset:8 scope:SCOPE_SYS
.LBB12_14:
	s_wait_xcnt 0x0
	s_or_b32 exec_lo, exec_lo, s6
	s_wait_loadcnt 0x0
	global_load_b64 v[2:3], v[0:1], off offset:16
	s_wait_loadcnt 0x0
	v_cmp_eq_u64_e32 vcc_lo, 0, v[2:3]
	s_cbranch_vccnz .LBB12_16
; %bb.15:
	global_load_b32 v0, v[0:1], off offset:24
	s_wait_xcnt 0x0
	v_mov_b32_e32 v1, 0
	s_wait_loadcnt 0x0
	v_readfirstlane_b32 s6, v0
	global_wb scope:SCOPE_SYS
	s_wait_storecnt 0x0
	global_store_b64 v[2:3], v[0:1], off scope:SCOPE_SYS
	s_and_b32 m0, s6, 0xffffff
	s_sendmsg sendmsg(MSG_INTERRUPT)
.LBB12_16:
	s_wait_xcnt 0x0
	s_or_b32 exec_lo, exec_lo, s1
	v_add_nc_u64_e32 v[0:1], v[8:9], v[30:31]
	s_branch .LBB12_20
.LBB12_17:                              ;   in Loop: Header=BB12_20 Depth=1
	s_wait_xcnt 0x0
	s_or_b32 exec_lo, exec_lo, s1
	s_delay_alu instid0(VALU_DEP_1)
	v_readfirstlane_b32 s1, v2
	s_cmp_eq_u32 s1, 0
	s_cbranch_scc1 .LBB12_19
; %bb.18:                               ;   in Loop: Header=BB12_20 Depth=1
	s_sleep 1
	s_cbranch_execnz .LBB12_20
	s_branch .LBB12_22
.LBB12_19:
	s_branch .LBB12_22
.LBB12_20:                              ; =>This Inner Loop Header: Depth=1
	v_mov_b32_e32 v2, 1
	s_and_saveexec_b32 s1, s0
	s_cbranch_execz .LBB12_17
; %bb.21:                               ;   in Loop: Header=BB12_20 Depth=1
	global_load_b32 v2, v[6:7], off offset:20 scope:SCOPE_SYS
	s_wait_loadcnt 0x0
	global_inv scope:SCOPE_SYS
	v_and_b32_e32 v2, 1, v2
	s_branch .LBB12_17
.LBB12_22:
	global_load_b64 v[6:7], v[0:1], off
	s_wait_xcnt 0x0
	s_and_saveexec_b32 s6, s0
	s_cbranch_execz .LBB12_26
; %bb.23:
	v_mov_b32_e32 v10, 0
	s_clause 0x2
	global_load_b64 v[0:1], v10, s[2:3] offset:40
	global_load_b64 v[14:15], v10, s[2:3] offset:24 scope:SCOPE_SYS
	global_load_b64 v[2:3], v10, s[2:3]
	s_wait_loadcnt 0x2
	v_readfirstlane_b32 s10, v0
	v_readfirstlane_b32 s11, v1
	s_add_nc_u64 s[0:1], s[10:11], 1
	s_delay_alu instid0(SALU_CYCLE_1) | instskip(NEXT) | instid1(SALU_CYCLE_1)
	s_add_nc_u64 s[4:5], s[0:1], s[4:5]
	s_cmp_eq_u64 s[4:5], 0
	s_cselect_b32 s1, s1, s5
	s_cselect_b32 s0, s0, s4
	v_mov_b32_e32 v13, s1
	s_and_b64 s[4:5], s[0:1], s[10:11]
	v_mov_b32_e32 v12, s0
	s_mul_u64 s[4:5], s[4:5], 24
	s_wait_loadcnt 0x0
	v_add_nc_u64_e32 v[8:9], s[4:5], v[2:3]
	global_store_b64 v[8:9], v[14:15], off
	global_wb scope:SCOPE_SYS
	s_wait_storecnt 0x0
	s_wait_xcnt 0x0
	global_atomic_cmpswap_b64 v[2:3], v10, v[12:15], s[2:3] offset:24 th:TH_ATOMIC_RETURN scope:SCOPE_SYS
	s_wait_loadcnt 0x0
	v_cmp_ne_u64_e32 vcc_lo, v[2:3], v[14:15]
	s_and_b32 exec_lo, exec_lo, vcc_lo
	s_cbranch_execz .LBB12_26
; %bb.24:
	s_mov_b32 s4, 0
.LBB12_25:                              ; =>This Inner Loop Header: Depth=1
	v_dual_mov_b32 v0, s0 :: v_dual_mov_b32 v1, s1
	s_sleep 1
	global_store_b64 v[8:9], v[2:3], off
	global_wb scope:SCOPE_SYS
	s_wait_storecnt 0x0
	s_wait_xcnt 0x0
	global_atomic_cmpswap_b64 v[0:1], v10, v[0:3], s[2:3] offset:24 th:TH_ATOMIC_RETURN scope:SCOPE_SYS
	s_wait_loadcnt 0x0
	v_cmp_eq_u64_e32 vcc_lo, v[0:1], v[2:3]
	v_mov_b64_e32 v[2:3], v[0:1]
	s_or_b32 s4, vcc_lo, s4
	s_delay_alu instid0(SALU_CYCLE_1)
	s_and_not1_b32 exec_lo, exec_lo, s4
	s_cbranch_execnz .LBB12_25
.LBB12_26:
	s_or_b32 exec_lo, exec_lo, s6
	s_mov_b32 s1, s33
	s_mov_b32 s0, 0
.LBB12_27:                              ; =>This Inner Loop Header: Depth=1
	scratch_load_u8 v0, off, s1
	s_wait_xcnt 0x0
	s_add_co_i32 s1, s1, 1
	s_wait_loadcnt 0x0
	v_cmp_eq_u16_e32 vcc_lo, 0, v0
	v_mov_b32_e32 v0, s1
	s_or_b32 s0, vcc_lo, s0
	s_delay_alu instid0(SALU_CYCLE_1)
	s_and_not1_b32 exec_lo, exec_lo, s0
	s_cbranch_execnz .LBB12_27
; %bb.28:
	s_or_b32 exec_lo, exec_lo, s0
	s_cmp_lg_u32 s33, -1
	s_cbranch_scc0 .LBB12_113
; %bb.29:
	s_mov_b64 s[0:1], src_flat_scratch_base_lo
	v_mov_b64_e32 v[10:11], 0x100000002
	v_dual_add_nc_u32 v0, s0, v0 :: v_dual_bitop2_b32 v28, 2, v6 bitop3:0x40
	s_add_co_i32 s0, s33, s0
	v_dual_mov_b32 v31, 0 :: v_dual_mov_b32 v29, s33
	s_delay_alu instid0(VALU_DEP_2) | instskip(SKIP_3) | instid1(VALU_DEP_2)
	v_subrev_nc_u32_e32 v32, s0, v0
	v_dual_mov_b32 v1, v7 :: v_dual_bitop2_b32 v0, -3, v6 bitop3:0x40
	s_mov_b32 s7, 0
	s_mov_b32 s6, 0
	v_ashrrev_i32_e32 v33, 31, v32
	s_branch .LBB12_31
.LBB12_30:                              ;   in Loop: Header=BB12_31 Depth=1
	s_or_b32 exec_lo, exec_lo, s10
	v_sub_nc_u64_e32 v[32:33], v[32:33], v[34:35]
	v_add_nc_u32_e32 v29, v29, v34
	s_delay_alu instid0(VALU_DEP_2) | instskip(SKIP_1) | instid1(SALU_CYCLE_1)
	v_cmp_eq_u64_e32 vcc_lo, 0, v[32:33]
	s_or_b32 s6, vcc_lo, s6
	s_and_not1_b32 exec_lo, exec_lo, s6
	s_cbranch_execz .LBB12_192
.LBB12_31:                              ; =>This Loop Header: Depth=1
                                        ;     Child Loop BB12_34 Depth 2
                                        ;     Child Loop BB12_42 Depth 2
	;; [unrolled: 1-line block ×11, first 2 shown]
	s_delay_alu instid0(VALU_DEP_1)
	v_min_u64 v[34:35], v[32:33], 56
	v_add_nc_u32_e32 v9, 8, v29
	s_mov_b32 s0, exec_lo
	v_cmpx_gt_u64_e32 8, v[32:33]
	s_xor_b32 s4, exec_lo, s0
	s_cbranch_execz .LBB12_37
; %bb.32:                               ;   in Loop: Header=BB12_31 Depth=1
	v_mov_b64_e32 v[2:3], 0
	s_mov_b32 s5, exec_lo
	v_cmpx_ne_u64_e32 0, v[32:33]
	s_cbranch_execz .LBB12_36
; %bb.33:                               ;   in Loop: Header=BB12_31 Depth=1
	v_mov_b64_e32 v[2:3], 0
	v_dual_mov_b32 v9, v29 :: v_dual_lshlrev_b32 v8, 3, v34
	s_mov_b64 s[0:1], 0
	s_mov_b32 s10, 0
.LBB12_34:                              ;   Parent Loop BB12_31 Depth=1
                                        ; =>  This Inner Loop Header: Depth=2
	scratch_load_u8 v12, v9, off
	s_wait_xcnt 0x0
	v_dual_mov_b32 v13, s7 :: v_dual_add_nc_u32 v9, 1, v9
	s_wait_loadcnt 0x0
	v_and_b32_e32 v12, 0xffff, v12
	s_delay_alu instid0(VALU_DEP_1) | instskip(SKIP_1) | instid1(SALU_CYCLE_1)
	v_lshlrev_b64_e32 v[12:13], s0, v[12:13]
	s_add_nc_u64 s[0:1], s[0:1], 8
	v_cmp_eq_u32_e32 vcc_lo, s0, v8
	s_delay_alu instid0(VALU_DEP_2) | instskip(NEXT) | instid1(VALU_DEP_3)
	v_or_b32_e32 v3, v13, v3
	v_or_b32_e32 v2, v12, v2
	s_or_b32 s10, vcc_lo, s10
	s_delay_alu instid0(SALU_CYCLE_1)
	s_and_not1_b32 exec_lo, exec_lo, s10
	s_cbranch_execnz .LBB12_34
; %bb.35:                               ;   in Loop: Header=BB12_31 Depth=1
	s_or_b32 exec_lo, exec_lo, s10
.LBB12_36:                              ;   in Loop: Header=BB12_31 Depth=1
	s_delay_alu instid0(SALU_CYCLE_1)
	s_or_b32 exec_lo, exec_lo, s5
	v_mov_b32_e32 v9, v29
.LBB12_37:                              ;   in Loop: Header=BB12_31 Depth=1
	s_or_saveexec_b32 s0, s4
	v_mov_b32_e32 v14, 0
	s_xor_b32 exec_lo, exec_lo, s0
	s_cbranch_execz .LBB12_39
; %bb.38:                               ;   in Loop: Header=BB12_31 Depth=1
	scratch_load_b64 v[2:3], v29, off
	v_add_nc_u32_e32 v14, -8, v34
.LBB12_39:                              ;   in Loop: Header=BB12_31 Depth=1
	s_wait_xcnt 0x0
	s_or_b32 exec_lo, exec_lo, s0
	v_add_nc_u32_e32 v8, 8, v9
                                        ; implicit-def: $vgpr12_vgpr13
	s_mov_b32 s0, exec_lo
	v_cmpx_gt_u32_e32 8, v14
	s_xor_b32 s4, exec_lo, s0
	s_cbranch_execz .LBB12_45
; %bb.40:                               ;   in Loop: Header=BB12_31 Depth=1
	v_mov_b64_e32 v[12:13], 0
	s_mov_b32 s5, exec_lo
	v_cmpx_ne_u32_e32 0, v14
	s_cbranch_execz .LBB12_44
; %bb.41:                               ;   in Loop: Header=BB12_31 Depth=1
	v_mov_b64_e32 v[12:13], 0
	s_mov_b64 s[0:1], 0
	s_mov_b32 s10, 0
	s_mov_b32 s11, 0
.LBB12_42:                              ;   Parent Loop BB12_31 Depth=1
                                        ; =>  This Inner Loop Header: Depth=2
	scratch_load_u8 v8, v9, s11
	v_mov_b32_e32 v17, s7
	s_wait_xcnt 0x0
	s_add_co_i32 s11, s11, 1
	s_delay_alu instid0(SALU_CYCLE_1) | instskip(SKIP_3) | instid1(VALU_DEP_1)
	v_cmp_eq_u32_e32 vcc_lo, s11, v14
	s_or_b32 s10, vcc_lo, s10
	s_wait_loadcnt 0x0
	v_and_b32_e32 v16, 0xffff, v8
	v_lshlrev_b64_e32 v[16:17], s0, v[16:17]
	s_add_nc_u64 s[0:1], s[0:1], 8
	s_delay_alu instid0(VALU_DEP_1) | instskip(NEXT) | instid1(VALU_DEP_2)
	v_or_b32_e32 v13, v17, v13
	v_or_b32_e32 v12, v16, v12
	s_and_not1_b32 exec_lo, exec_lo, s10
	s_cbranch_execnz .LBB12_42
; %bb.43:                               ;   in Loop: Header=BB12_31 Depth=1
	s_or_b32 exec_lo, exec_lo, s10
.LBB12_44:                              ;   in Loop: Header=BB12_31 Depth=1
	s_delay_alu instid0(SALU_CYCLE_1)
	s_or_b32 exec_lo, exec_lo, s5
	v_mov_b32_e32 v8, v9
                                        ; implicit-def: $vgpr14
.LBB12_45:                              ;   in Loop: Header=BB12_31 Depth=1
	s_or_saveexec_b32 s0, s4
	v_mov_b32_e32 v16, 0
	s_xor_b32 exec_lo, exec_lo, s0
	s_cbranch_execz .LBB12_47
; %bb.46:                               ;   in Loop: Header=BB12_31 Depth=1
	scratch_load_b64 v[12:13], v9, off
	v_add_nc_u32_e32 v16, -8, v14
.LBB12_47:                              ;   in Loop: Header=BB12_31 Depth=1
	s_wait_xcnt 0x0
	s_or_b32 exec_lo, exec_lo, s0
	v_add_nc_u32_e32 v9, 8, v8
	s_mov_b32 s0, exec_lo
	v_cmpx_gt_u32_e32 8, v16
	s_xor_b32 s4, exec_lo, s0
	s_cbranch_execz .LBB12_53
; %bb.48:                               ;   in Loop: Header=BB12_31 Depth=1
	v_mov_b64_e32 v[14:15], 0
	s_mov_b32 s5, exec_lo
	v_cmpx_ne_u32_e32 0, v16
	s_cbranch_execz .LBB12_52
; %bb.49:                               ;   in Loop: Header=BB12_31 Depth=1
	v_mov_b64_e32 v[14:15], 0
	s_mov_b64 s[0:1], 0
	s_mov_b32 s10, 0
	s_mov_b32 s11, 0
.LBB12_50:                              ;   Parent Loop BB12_31 Depth=1
                                        ; =>  This Inner Loop Header: Depth=2
	scratch_load_u8 v9, v8, s11
	v_mov_b32_e32 v19, s7
	s_wait_xcnt 0x0
	s_add_co_i32 s11, s11, 1
	s_delay_alu instid0(SALU_CYCLE_1) | instskip(SKIP_3) | instid1(VALU_DEP_1)
	v_cmp_eq_u32_e32 vcc_lo, s11, v16
	s_or_b32 s10, vcc_lo, s10
	s_wait_loadcnt 0x0
	v_and_b32_e32 v18, 0xffff, v9
	v_lshlrev_b64_e32 v[18:19], s0, v[18:19]
	s_add_nc_u64 s[0:1], s[0:1], 8
	s_delay_alu instid0(VALU_DEP_1) | instskip(NEXT) | instid1(VALU_DEP_2)
	v_or_b32_e32 v15, v19, v15
	v_or_b32_e32 v14, v18, v14
	s_and_not1_b32 exec_lo, exec_lo, s10
	s_cbranch_execnz .LBB12_50
; %bb.51:                               ;   in Loop: Header=BB12_31 Depth=1
	s_or_b32 exec_lo, exec_lo, s10
.LBB12_52:                              ;   in Loop: Header=BB12_31 Depth=1
	s_delay_alu instid0(SALU_CYCLE_1)
	s_or_b32 exec_lo, exec_lo, s5
	v_mov_b32_e32 v9, v8
                                        ; implicit-def: $vgpr16
.LBB12_53:                              ;   in Loop: Header=BB12_31 Depth=1
	s_or_saveexec_b32 s0, s4
	v_mov_b32_e32 v18, 0
	s_xor_b32 exec_lo, exec_lo, s0
	s_cbranch_execz .LBB12_55
; %bb.54:                               ;   in Loop: Header=BB12_31 Depth=1
	scratch_load_b64 v[14:15], v8, off
	v_add_nc_u32_e32 v18, -8, v16
.LBB12_55:                              ;   in Loop: Header=BB12_31 Depth=1
	s_wait_xcnt 0x0
	s_or_b32 exec_lo, exec_lo, s0
	v_add_nc_u32_e32 v8, 8, v9
                                        ; implicit-def: $vgpr16_vgpr17
	s_mov_b32 s0, exec_lo
	v_cmpx_gt_u32_e32 8, v18
	s_xor_b32 s4, exec_lo, s0
	s_cbranch_execz .LBB12_61
; %bb.56:                               ;   in Loop: Header=BB12_31 Depth=1
	v_mov_b64_e32 v[16:17], 0
	s_mov_b32 s5, exec_lo
	v_cmpx_ne_u32_e32 0, v18
	s_cbranch_execz .LBB12_60
; %bb.57:                               ;   in Loop: Header=BB12_31 Depth=1
	v_mov_b64_e32 v[16:17], 0
	s_mov_b64 s[0:1], 0
	s_mov_b32 s10, 0
	s_mov_b32 s11, 0
.LBB12_58:                              ;   Parent Loop BB12_31 Depth=1
                                        ; =>  This Inner Loop Header: Depth=2
	scratch_load_u8 v8, v9, s11
	v_mov_b32_e32 v21, s7
	s_wait_xcnt 0x0
	s_add_co_i32 s11, s11, 1
	s_delay_alu instid0(SALU_CYCLE_1) | instskip(SKIP_3) | instid1(VALU_DEP_1)
	v_cmp_eq_u32_e32 vcc_lo, s11, v18
	s_or_b32 s10, vcc_lo, s10
	s_wait_loadcnt 0x0
	v_and_b32_e32 v20, 0xffff, v8
	v_lshlrev_b64_e32 v[20:21], s0, v[20:21]
	s_add_nc_u64 s[0:1], s[0:1], 8
	s_delay_alu instid0(VALU_DEP_1) | instskip(NEXT) | instid1(VALU_DEP_2)
	v_or_b32_e32 v17, v21, v17
	v_or_b32_e32 v16, v20, v16
	s_and_not1_b32 exec_lo, exec_lo, s10
	s_cbranch_execnz .LBB12_58
; %bb.59:                               ;   in Loop: Header=BB12_31 Depth=1
	s_or_b32 exec_lo, exec_lo, s10
.LBB12_60:                              ;   in Loop: Header=BB12_31 Depth=1
	s_delay_alu instid0(SALU_CYCLE_1)
	s_or_b32 exec_lo, exec_lo, s5
	v_mov_b32_e32 v8, v9
                                        ; implicit-def: $vgpr18
.LBB12_61:                              ;   in Loop: Header=BB12_31 Depth=1
	s_or_saveexec_b32 s0, s4
	v_mov_b32_e32 v20, 0
	s_xor_b32 exec_lo, exec_lo, s0
	s_cbranch_execz .LBB12_63
; %bb.62:                               ;   in Loop: Header=BB12_31 Depth=1
	scratch_load_b64 v[16:17], v9, off
	v_add_nc_u32_e32 v20, -8, v18
.LBB12_63:                              ;   in Loop: Header=BB12_31 Depth=1
	s_wait_xcnt 0x0
	s_or_b32 exec_lo, exec_lo, s0
	v_add_nc_u32_e32 v9, 8, v8
	s_mov_b32 s0, exec_lo
	v_cmpx_gt_u32_e32 8, v20
	s_xor_b32 s4, exec_lo, s0
	s_cbranch_execz .LBB12_69
; %bb.64:                               ;   in Loop: Header=BB12_31 Depth=1
	v_mov_b64_e32 v[18:19], 0
	s_mov_b32 s5, exec_lo
	v_cmpx_ne_u32_e32 0, v20
	s_cbranch_execz .LBB12_68
; %bb.65:                               ;   in Loop: Header=BB12_31 Depth=1
	v_mov_b64_e32 v[18:19], 0
	s_mov_b64 s[0:1], 0
	s_mov_b32 s10, 0
	s_mov_b32 s11, 0
.LBB12_66:                              ;   Parent Loop BB12_31 Depth=1
                                        ; =>  This Inner Loop Header: Depth=2
	scratch_load_u8 v9, v8, s11
	v_mov_b32_e32 v23, s7
	s_wait_xcnt 0x0
	s_add_co_i32 s11, s11, 1
	s_delay_alu instid0(SALU_CYCLE_1) | instskip(SKIP_3) | instid1(VALU_DEP_1)
	v_cmp_eq_u32_e32 vcc_lo, s11, v20
	s_or_b32 s10, vcc_lo, s10
	s_wait_loadcnt 0x0
	v_and_b32_e32 v22, 0xffff, v9
	v_lshlrev_b64_e32 v[22:23], s0, v[22:23]
	s_add_nc_u64 s[0:1], s[0:1], 8
	s_delay_alu instid0(VALU_DEP_1) | instskip(NEXT) | instid1(VALU_DEP_2)
	v_or_b32_e32 v19, v23, v19
	v_or_b32_e32 v18, v22, v18
	s_and_not1_b32 exec_lo, exec_lo, s10
	s_cbranch_execnz .LBB12_66
; %bb.67:                               ;   in Loop: Header=BB12_31 Depth=1
	s_or_b32 exec_lo, exec_lo, s10
.LBB12_68:                              ;   in Loop: Header=BB12_31 Depth=1
	s_delay_alu instid0(SALU_CYCLE_1)
	s_or_b32 exec_lo, exec_lo, s5
	v_mov_b32_e32 v9, v8
                                        ; implicit-def: $vgpr20
.LBB12_69:                              ;   in Loop: Header=BB12_31 Depth=1
	s_or_saveexec_b32 s0, s4
	v_mov_b32_e32 v22, 0
	s_xor_b32 exec_lo, exec_lo, s0
	s_cbranch_execz .LBB12_71
; %bb.70:                               ;   in Loop: Header=BB12_31 Depth=1
	scratch_load_b64 v[18:19], v8, off
	v_add_nc_u32_e32 v22, -8, v20
.LBB12_71:                              ;   in Loop: Header=BB12_31 Depth=1
	s_wait_xcnt 0x0
	s_or_b32 exec_lo, exec_lo, s0
	v_add_nc_u32_e32 v8, 8, v9
                                        ; implicit-def: $vgpr20_vgpr21
	s_mov_b32 s0, exec_lo
	v_cmpx_gt_u32_e32 8, v22
	s_xor_b32 s4, exec_lo, s0
	s_cbranch_execz .LBB12_77
; %bb.72:                               ;   in Loop: Header=BB12_31 Depth=1
	v_mov_b64_e32 v[20:21], 0
	s_mov_b32 s5, exec_lo
	v_cmpx_ne_u32_e32 0, v22
	s_cbranch_execz .LBB12_76
; %bb.73:                               ;   in Loop: Header=BB12_31 Depth=1
	v_mov_b64_e32 v[20:21], 0
	s_mov_b64 s[0:1], 0
	s_mov_b32 s10, 0
	s_mov_b32 s11, 0
.LBB12_74:                              ;   Parent Loop BB12_31 Depth=1
                                        ; =>  This Inner Loop Header: Depth=2
	scratch_load_u8 v8, v9, s11
	v_mov_b32_e32 v25, s7
	s_wait_xcnt 0x0
	s_add_co_i32 s11, s11, 1
	s_delay_alu instid0(SALU_CYCLE_1) | instskip(SKIP_3) | instid1(VALU_DEP_1)
	v_cmp_eq_u32_e32 vcc_lo, s11, v22
	s_or_b32 s10, vcc_lo, s10
	s_wait_loadcnt 0x0
	v_and_b32_e32 v24, 0xffff, v8
	v_lshlrev_b64_e32 v[24:25], s0, v[24:25]
	s_add_nc_u64 s[0:1], s[0:1], 8
	s_delay_alu instid0(VALU_DEP_1) | instskip(NEXT) | instid1(VALU_DEP_2)
	v_or_b32_e32 v21, v25, v21
	v_or_b32_e32 v20, v24, v20
	s_and_not1_b32 exec_lo, exec_lo, s10
	s_cbranch_execnz .LBB12_74
; %bb.75:                               ;   in Loop: Header=BB12_31 Depth=1
	s_or_b32 exec_lo, exec_lo, s10
.LBB12_76:                              ;   in Loop: Header=BB12_31 Depth=1
	s_delay_alu instid0(SALU_CYCLE_1)
	s_or_b32 exec_lo, exec_lo, s5
	v_mov_b32_e32 v8, v9
                                        ; implicit-def: $vgpr22
.LBB12_77:                              ;   in Loop: Header=BB12_31 Depth=1
	s_or_saveexec_b32 s0, s4
	v_mov_b32_e32 v24, 0
	s_xor_b32 exec_lo, exec_lo, s0
	s_cbranch_execz .LBB12_79
; %bb.78:                               ;   in Loop: Header=BB12_31 Depth=1
	scratch_load_b64 v[20:21], v9, off
	v_add_nc_u32_e32 v24, -8, v22
.LBB12_79:                              ;   in Loop: Header=BB12_31 Depth=1
	s_wait_xcnt 0x0
	s_or_b32 exec_lo, exec_lo, s0
	s_delay_alu instid0(SALU_CYCLE_1) | instskip(NEXT) | instid1(VALU_DEP_1)
	s_mov_b32 s0, exec_lo
	v_cmpx_gt_u32_e32 8, v24
	s_xor_b32 s4, exec_lo, s0
	s_cbranch_execz .LBB12_85
; %bb.80:                               ;   in Loop: Header=BB12_31 Depth=1
	v_mov_b64_e32 v[22:23], 0
	s_mov_b32 s5, exec_lo
	v_cmpx_ne_u32_e32 0, v24
	s_cbranch_execz .LBB12_84
; %bb.81:                               ;   in Loop: Header=BB12_31 Depth=1
	v_mov_b64_e32 v[22:23], 0
	s_mov_b64 s[0:1], 0
	s_mov_b32 s10, 0
.LBB12_82:                              ;   Parent Loop BB12_31 Depth=1
                                        ; =>  This Inner Loop Header: Depth=2
	scratch_load_u8 v9, v8, off
	v_dual_mov_b32 v27, s7 :: v_dual_add_nc_u32 v24, -1, v24
	s_delay_alu instid0(VALU_DEP_1) | instskip(SKIP_3) | instid1(VALU_DEP_1)
	v_cmp_eq_u32_e32 vcc_lo, 0, v24
	s_or_b32 s10, vcc_lo, s10
	s_wait_loadcnt 0x0
	v_and_b32_e32 v26, 0xffff, v9
	v_lshlrev_b64_e32 v[26:27], s0, v[26:27]
	s_wait_xcnt 0x0
	v_add_nc_u32_e32 v8, 1, v8
	s_add_nc_u64 s[0:1], s[0:1], 8
	s_delay_alu instid0(VALU_DEP_2) | instskip(NEXT) | instid1(VALU_DEP_3)
	v_or_b32_e32 v23, v27, v23
	v_or_b32_e32 v22, v26, v22
	s_and_not1_b32 exec_lo, exec_lo, s10
	s_cbranch_execnz .LBB12_82
; %bb.83:                               ;   in Loop: Header=BB12_31 Depth=1
	s_or_b32 exec_lo, exec_lo, s10
.LBB12_84:                              ;   in Loop: Header=BB12_31 Depth=1
	s_delay_alu instid0(SALU_CYCLE_1)
	s_or_b32 exec_lo, exec_lo, s5
                                        ; implicit-def: $vgpr8
.LBB12_85:                              ;   in Loop: Header=BB12_31 Depth=1
	s_and_not1_saveexec_b32 s0, s4
	s_cbranch_execz .LBB12_87
; %bb.86:                               ;   in Loop: Header=BB12_31 Depth=1
	scratch_load_b64 v[22:23], v8, off
.LBB12_87:                              ;   in Loop: Header=BB12_31 Depth=1
	s_wait_xcnt 0x0
	s_or_b32 exec_lo, exec_lo, s0
	v_readfirstlane_b32 s0, v48
	v_mov_b64_e32 v[8:9], 0
	s_delay_alu instid0(VALU_DEP_2)
	v_cmp_eq_u32_e64 s0, s0, v48
	s_and_saveexec_b32 s1, s0
	s_cbranch_execz .LBB12_93
; %bb.88:                               ;   in Loop: Header=BB12_31 Depth=1
	global_load_b64 v[26:27], v31, s[2:3] offset:24 scope:SCOPE_SYS
	s_wait_loadcnt 0x0
	global_inv scope:SCOPE_SYS
	s_clause 0x1
	global_load_b64 v[8:9], v31, s[2:3] offset:40
	global_load_b64 v[24:25], v31, s[2:3]
	s_mov_b32 s4, exec_lo
	s_wait_loadcnt 0x1
	v_and_b32_e32 v8, v8, v26
	v_and_b32_e32 v9, v9, v27
	s_delay_alu instid0(VALU_DEP_1) | instskip(SKIP_1) | instid1(VALU_DEP_1)
	v_mul_u64_e32 v[8:9], 24, v[8:9]
	s_wait_loadcnt 0x0
	v_add_nc_u64_e32 v[8:9], v[24:25], v[8:9]
	global_load_b64 v[24:25], v[8:9], off scope:SCOPE_SYS
	s_wait_xcnt 0x0
	s_wait_loadcnt 0x0
	global_atomic_cmpswap_b64 v[8:9], v31, v[24:27], s[2:3] offset:24 th:TH_ATOMIC_RETURN scope:SCOPE_SYS
	s_wait_loadcnt 0x0
	global_inv scope:SCOPE_SYS
	s_wait_xcnt 0x0
	v_cmpx_ne_u64_e64 v[8:9], v[26:27]
	s_cbranch_execz .LBB12_92
; %bb.89:                               ;   in Loop: Header=BB12_31 Depth=1
	s_mov_b32 s5, 0
.LBB12_90:                              ;   Parent Loop BB12_31 Depth=1
                                        ; =>  This Inner Loop Header: Depth=2
	s_sleep 1
	s_clause 0x1
	global_load_b64 v[24:25], v31, s[2:3] offset:40
	global_load_b64 v[36:37], v31, s[2:3]
	v_mov_b64_e32 v[26:27], v[8:9]
	s_wait_loadcnt 0x1
	s_delay_alu instid0(VALU_DEP_1) | instskip(NEXT) | instid1(VALU_DEP_2)
	v_and_b32_e32 v8, v24, v26
	v_and_b32_e32 v24, v25, v27
	s_wait_loadcnt 0x0
	s_delay_alu instid0(VALU_DEP_2) | instskip(NEXT) | instid1(VALU_DEP_1)
	v_mad_nc_u64_u32 v[8:9], v8, 24, v[36:37]
	v_mad_u32 v9, v24, 24, v9
	global_load_b64 v[24:25], v[8:9], off scope:SCOPE_SYS
	s_wait_xcnt 0x0
	s_wait_loadcnt 0x0
	global_atomic_cmpswap_b64 v[8:9], v31, v[24:27], s[2:3] offset:24 th:TH_ATOMIC_RETURN scope:SCOPE_SYS
	s_wait_loadcnt 0x0
	global_inv scope:SCOPE_SYS
	v_cmp_eq_u64_e32 vcc_lo, v[8:9], v[26:27]
	s_or_b32 s5, vcc_lo, s5
	s_wait_xcnt 0x0
	s_and_not1_b32 exec_lo, exec_lo, s5
	s_cbranch_execnz .LBB12_90
; %bb.91:                               ;   in Loop: Header=BB12_31 Depth=1
	s_or_b32 exec_lo, exec_lo, s5
.LBB12_92:                              ;   in Loop: Header=BB12_31 Depth=1
	s_delay_alu instid0(SALU_CYCLE_1)
	s_or_b32 exec_lo, exec_lo, s4
.LBB12_93:                              ;   in Loop: Header=BB12_31 Depth=1
	s_delay_alu instid0(SALU_CYCLE_1)
	s_or_b32 exec_lo, exec_lo, s1
	s_clause 0x1
	global_load_b64 v[36:37], v31, s[2:3] offset:40
	global_load_b128 v[24:27], v31, s[2:3]
	v_readfirstlane_b32 s4, v8
	v_readfirstlane_b32 s5, v9
	s_mov_b32 s1, exec_lo
	s_wait_loadcnt 0x1
	v_and_b32_e32 v38, s4, v36
	v_and_b32_e32 v39, s5, v37
	s_delay_alu instid0(VALU_DEP_1) | instskip(SKIP_1) | instid1(VALU_DEP_1)
	v_mul_u64_e32 v[8:9], 24, v[38:39]
	s_wait_loadcnt 0x0
	v_add_nc_u64_e32 v[36:37], v[24:25], v[8:9]
	s_wait_xcnt 0x0
	s_and_saveexec_b32 s10, s0
	s_cbranch_execz .LBB12_95
; %bb.94:                               ;   in Loop: Header=BB12_31 Depth=1
	v_dual_mov_b32 v8, s1 :: v_dual_mov_b32 v9, v31
	global_store_b128 v[36:37], v[8:11], off offset:8
.LBB12_95:                              ;   in Loop: Header=BB12_31 Depth=1
	s_wait_xcnt 0x0
	s_or_b32 exec_lo, exec_lo, s10
	v_cmp_gt_u64_e32 vcc_lo, 57, v[32:33]
	v_lshlrev_b64_e32 v[8:9], 12, v[38:39]
	v_and_b32_e32 v0, 0xffffff1f, v0
	v_lshl_add_u32 v39, v34, 2, 28
	v_cndmask_b32_e32 v38, 0, v28, vcc_lo
	s_delay_alu instid0(VALU_DEP_4) | instskip(NEXT) | instid1(VALU_DEP_2)
	v_add_nc_u64_e32 v[8:9], v[26:27], v[8:9]
	v_or_b32_e32 v0, v0, v38
	s_delay_alu instid0(VALU_DEP_2) | instskip(NEXT) | instid1(VALU_DEP_3)
	v_readfirstlane_b32 s10, v8
	v_readfirstlane_b32 s11, v9
	s_delay_alu instid0(VALU_DEP_3)
	v_and_or_b32 v0, 0x1e0, v39, v0
	s_clause 0x3
	global_store_b128 v30, v[0:3], s[10:11]
	global_store_b128 v30, v[12:15], s[10:11] offset:16
	global_store_b128 v30, v[16:19], s[10:11] offset:32
	;; [unrolled: 1-line block ×3, first 2 shown]
	s_wait_xcnt 0x0
	s_and_saveexec_b32 s1, s0
	s_cbranch_execz .LBB12_103
; %bb.96:                               ;   in Loop: Header=BB12_31 Depth=1
	s_clause 0x1
	global_load_b64 v[16:17], v31, s[2:3] offset:32 scope:SCOPE_SYS
	global_load_b64 v[0:1], v31, s[2:3] offset:40
	s_mov_b32 s10, exec_lo
	v_dual_mov_b32 v14, s4 :: v_dual_mov_b32 v15, s5
	s_wait_loadcnt 0x0
	v_and_b32_e32 v1, s5, v1
	v_and_b32_e32 v0, s4, v0
	s_delay_alu instid0(VALU_DEP_1) | instskip(NEXT) | instid1(VALU_DEP_1)
	v_mul_u64_e32 v[0:1], 24, v[0:1]
	v_add_nc_u64_e32 v[12:13], v[24:25], v[0:1]
	global_store_b64 v[12:13], v[16:17], off
	global_wb scope:SCOPE_SYS
	s_wait_storecnt 0x0
	s_wait_xcnt 0x0
	global_atomic_cmpswap_b64 v[2:3], v31, v[14:17], s[2:3] offset:32 th:TH_ATOMIC_RETURN scope:SCOPE_SYS
	s_wait_loadcnt 0x0
	v_cmpx_ne_u64_e64 v[2:3], v[16:17]
	s_cbranch_execz .LBB12_99
; %bb.97:                               ;   in Loop: Header=BB12_31 Depth=1
	s_mov_b32 s11, 0
.LBB12_98:                              ;   Parent Loop BB12_31 Depth=1
                                        ; =>  This Inner Loop Header: Depth=2
	v_dual_mov_b32 v0, s4 :: v_dual_mov_b32 v1, s5
	s_sleep 1
	global_store_b64 v[12:13], v[2:3], off
	global_wb scope:SCOPE_SYS
	s_wait_storecnt 0x0
	s_wait_xcnt 0x0
	global_atomic_cmpswap_b64 v[0:1], v31, v[0:3], s[2:3] offset:32 th:TH_ATOMIC_RETURN scope:SCOPE_SYS
	s_wait_loadcnt 0x0
	v_cmp_eq_u64_e32 vcc_lo, v[0:1], v[2:3]
	v_mov_b64_e32 v[2:3], v[0:1]
	s_or_b32 s11, vcc_lo, s11
	s_delay_alu instid0(SALU_CYCLE_1)
	s_and_not1_b32 exec_lo, exec_lo, s11
	s_cbranch_execnz .LBB12_98
.LBB12_99:                              ;   in Loop: Header=BB12_31 Depth=1
	s_or_b32 exec_lo, exec_lo, s10
	global_load_b64 v[0:1], v31, s[2:3] offset:16
	s_mov_b32 s11, exec_lo
	s_mov_b32 s10, exec_lo
	v_mbcnt_lo_u32_b32 v2, s11, 0
	s_wait_xcnt 0x0
	s_delay_alu instid0(VALU_DEP_1)
	v_cmpx_eq_u32_e32 0, v2
	s_cbranch_execz .LBB12_101
; %bb.100:                              ;   in Loop: Header=BB12_31 Depth=1
	s_bcnt1_i32_b32 s11, s11
	s_delay_alu instid0(SALU_CYCLE_1)
	v_dual_mov_b32 v3, v31 :: v_dual_mov_b32 v2, s11
	global_wb scope:SCOPE_SYS
	s_wait_loadcnt 0x0
	s_wait_storecnt 0x0
	global_atomic_add_u64 v[0:1], v[2:3], off offset:8 scope:SCOPE_SYS
.LBB12_101:                             ;   in Loop: Header=BB12_31 Depth=1
	s_wait_xcnt 0x0
	s_or_b32 exec_lo, exec_lo, s10
	s_wait_loadcnt 0x0
	global_load_b64 v[2:3], v[0:1], off offset:16
	s_wait_loadcnt 0x0
	v_cmp_eq_u64_e32 vcc_lo, 0, v[2:3]
	s_cbranch_vccnz .LBB12_103
; %bb.102:                              ;   in Loop: Header=BB12_31 Depth=1
	global_load_b32 v0, v[0:1], off offset:24
	s_wait_xcnt 0x0
	v_mov_b32_e32 v1, v31
	s_wait_loadcnt 0x0
	v_readfirstlane_b32 s10, v0
	global_wb scope:SCOPE_SYS
	s_wait_storecnt 0x0
	global_store_b64 v[2:3], v[0:1], off scope:SCOPE_SYS
	s_and_b32 m0, s10, 0xffffff
	s_sendmsg sendmsg(MSG_INTERRUPT)
.LBB12_103:                             ;   in Loop: Header=BB12_31 Depth=1
	s_wait_xcnt 0x0
	s_or_b32 exec_lo, exec_lo, s1
	v_add_nc_u64_e32 v[0:1], v[8:9], v[30:31]
	s_branch .LBB12_107
.LBB12_104:                             ;   in Loop: Header=BB12_107 Depth=2
	s_wait_xcnt 0x0
	s_or_b32 exec_lo, exec_lo, s1
	s_delay_alu instid0(VALU_DEP_1)
	v_readfirstlane_b32 s1, v2
	s_cmp_eq_u32 s1, 0
	s_cbranch_scc1 .LBB12_106
; %bb.105:                              ;   in Loop: Header=BB12_107 Depth=2
	s_sleep 1
	s_cbranch_execnz .LBB12_107
	s_branch .LBB12_109
.LBB12_106:                             ;   in Loop: Header=BB12_31 Depth=1
	s_branch .LBB12_109
.LBB12_107:                             ;   Parent Loop BB12_31 Depth=1
                                        ; =>  This Inner Loop Header: Depth=2
	v_mov_b32_e32 v2, 1
	s_and_saveexec_b32 s1, s0
	s_cbranch_execz .LBB12_104
; %bb.108:                              ;   in Loop: Header=BB12_107 Depth=2
	global_load_b32 v2, v[36:37], off offset:20 scope:SCOPE_SYS
	s_wait_loadcnt 0x0
	global_inv scope:SCOPE_SYS
	v_and_b32_e32 v2, 1, v2
	s_branch .LBB12_104
.LBB12_109:                             ;   in Loop: Header=BB12_31 Depth=1
	global_load_b64 v[0:1], v[0:1], off
	s_wait_xcnt 0x0
	s_and_saveexec_b32 s10, s0
	s_cbranch_execz .LBB12_30
; %bb.110:                              ;   in Loop: Header=BB12_31 Depth=1
	s_clause 0x2
	global_load_b64 v[2:3], v31, s[2:3] offset:40
	global_load_b64 v[16:17], v31, s[2:3] offset:24 scope:SCOPE_SYS
	global_load_b64 v[8:9], v31, s[2:3]
	s_wait_loadcnt 0x2
	v_readfirstlane_b32 s12, v2
	v_readfirstlane_b32 s13, v3
	s_add_nc_u64 s[0:1], s[12:13], 1
	s_delay_alu instid0(SALU_CYCLE_1) | instskip(NEXT) | instid1(SALU_CYCLE_1)
	s_add_nc_u64 s[4:5], s[0:1], s[4:5]
	s_cmp_eq_u64 s[4:5], 0
	s_cselect_b32 s1, s1, s5
	s_cselect_b32 s0, s0, s4
	s_delay_alu instid0(SALU_CYCLE_1) | instskip(SKIP_1) | instid1(SALU_CYCLE_1)
	v_dual_mov_b32 v15, s1 :: v_dual_mov_b32 v14, s0
	s_and_b64 s[4:5], s[0:1], s[12:13]
	s_mul_u64 s[4:5], s[4:5], 24
	s_wait_loadcnt 0x0
	v_add_nc_u64_e32 v[2:3], s[4:5], v[8:9]
	global_store_b64 v[2:3], v[16:17], off
	global_wb scope:SCOPE_SYS
	s_wait_storecnt 0x0
	s_wait_xcnt 0x0
	global_atomic_cmpswap_b64 v[14:15], v31, v[14:17], s[2:3] offset:24 th:TH_ATOMIC_RETURN scope:SCOPE_SYS
	s_wait_loadcnt 0x0
	v_cmp_ne_u64_e32 vcc_lo, v[14:15], v[16:17]
	s_and_b32 exec_lo, exec_lo, vcc_lo
	s_cbranch_execz .LBB12_30
; %bb.111:                              ;   in Loop: Header=BB12_31 Depth=1
	s_mov_b32 s4, 0
.LBB12_112:                             ;   Parent Loop BB12_31 Depth=1
                                        ; =>  This Inner Loop Header: Depth=2
	v_dual_mov_b32 v12, s0 :: v_dual_mov_b32 v13, s1
	s_sleep 1
	global_store_b64 v[2:3], v[14:15], off
	global_wb scope:SCOPE_SYS
	s_wait_storecnt 0x0
	s_wait_xcnt 0x0
	global_atomic_cmpswap_b64 v[8:9], v31, v[12:15], s[2:3] offset:24 th:TH_ATOMIC_RETURN scope:SCOPE_SYS
	s_wait_loadcnt 0x0
	v_cmp_eq_u64_e32 vcc_lo, v[8:9], v[14:15]
	v_mov_b64_e32 v[14:15], v[8:9]
	s_or_b32 s4, vcc_lo, s4
	s_delay_alu instid0(SALU_CYCLE_1)
	s_and_not1_b32 exec_lo, exec_lo, s4
	s_cbranch_execnz .LBB12_112
	s_branch .LBB12_30
.LBB12_113:
                                        ; implicit-def: $vgpr0_vgpr1
	s_cbranch_execnz .LBB12_193
.LBB12_114:
	s_get_pc_i64 s[4:5]
	s_add_nc_u64 s[4:5], s[4:5], .str.6@rel64+4
	s_delay_alu instid0(SALU_CYCLE_1)
	s_cmp_lg_u64 s[4:5], 0
	s_cbranch_scc0 .LBB12_221
.LBB12_115:
	v_mov_b64_e32 v[12:13], 0x100000002
	s_get_pc_i64 s[0:1]
	s_add_nc_u64 s[0:1], s[0:1], .str.6@rel64+95
	s_wait_loadcnt 0x0
	v_dual_mov_b32 v11, 0 :: v_dual_bitop2_b32 v2, 2, v0 bitop3:0x40
	v_dual_mov_b32 v7, v1 :: v_dual_bitop2_b32 v6, -3, v0 bitop3:0x40
	s_sub_co_i32 s6, s0, s4
	s_delay_alu instid0(SALU_CYCLE_1)
	s_ashr_i32 s7, s6, 31
	s_branch .LBB12_117
.LBB12_116:                             ;   in Loop: Header=BB12_117 Depth=1
	s_or_b32 exec_lo, exec_lo, s14
	s_sub_nc_u64 s[6:7], s[6:7], s[10:11]
	s_add_nc_u64 s[4:5], s[4:5], s[10:11]
	s_cmp_lg_u64 s[6:7], 0
	s_cbranch_scc0 .LBB12_215
.LBB12_117:                             ; =>This Loop Header: Depth=1
                                        ;     Child Loop BB12_120 Depth 2
                                        ;     Child Loop BB12_127 Depth 2
                                        ;     Child Loop BB12_134 Depth 2
                                        ;     Child Loop BB12_141 Depth 2
                                        ;     Child Loop BB12_148 Depth 2
                                        ;     Child Loop BB12_155 Depth 2
                                        ;     Child Loop BB12_162 Depth 2
                                        ;     Child Loop BB12_169 Depth 2
                                        ;     Child Loop BB12_177 Depth 2
                                        ;     Child Loop BB12_186 Depth 2
                                        ;     Child Loop BB12_191 Depth 2
	v_min_u64 v[8:9], s[6:7], 56
	v_cmp_gt_u64_e64 s0, s[6:7], 7
	s_and_b32 vcc_lo, exec_lo, s0
	v_readfirstlane_b32 s10, v8
	v_readfirstlane_b32 s11, v9
	s_cbranch_vccnz .LBB12_122
; %bb.118:                              ;   in Loop: Header=BB12_117 Depth=1
	v_mov_b64_e32 v[8:9], 0
	s_cmp_eq_u64 s[6:7], 0
	s_cbranch_scc1 .LBB12_121
; %bb.119:                              ;   in Loop: Header=BB12_117 Depth=1
	s_mov_b64 s[0:1], 0
	s_mov_b64 s[12:13], 0
.LBB12_120:                             ;   Parent Loop BB12_117 Depth=1
                                        ; =>  This Inner Loop Header: Depth=2
	s_wait_xcnt 0x0
	s_add_nc_u64 s[14:15], s[4:5], s[12:13]
	s_add_nc_u64 s[12:13], s[12:13], 1
	global_load_u8 v3, v11, s[14:15]
	s_cmp_lg_u32 s10, s12
	s_wait_loadcnt 0x0
	v_and_b32_e32 v10, 0xffff, v3
	s_delay_alu instid0(VALU_DEP_1) | instskip(SKIP_1) | instid1(VALU_DEP_1)
	v_lshlrev_b64_e32 v[14:15], s0, v[10:11]
	s_add_nc_u64 s[0:1], s[0:1], 8
	v_or_b32_e32 v8, v14, v8
	s_delay_alu instid0(VALU_DEP_2)
	v_or_b32_e32 v9, v15, v9
	s_cbranch_scc1 .LBB12_120
.LBB12_121:                             ;   in Loop: Header=BB12_117 Depth=1
	s_mov_b64 s[12:13], s[4:5]
	s_mov_b32 s16, 0
	s_cbranch_execz .LBB12_123
	s_branch .LBB12_124
.LBB12_122:                             ;   in Loop: Header=BB12_117 Depth=1
	s_add_nc_u64 s[12:13], s[4:5], 8
	s_mov_b32 s16, 0
.LBB12_123:                             ;   in Loop: Header=BB12_117 Depth=1
	global_load_b64 v[8:9], v11, s[4:5]
	s_add_co_i32 s16, s10, -8
.LBB12_124:                             ;   in Loop: Header=BB12_117 Depth=1
	s_delay_alu instid0(SALU_CYCLE_1)
	s_cmp_gt_u32 s16, 7
	s_cbranch_scc1 .LBB12_129
; %bb.125:                              ;   in Loop: Header=BB12_117 Depth=1
	v_mov_b64_e32 v[14:15], 0
	s_cmp_eq_u32 s16, 0
	s_cbranch_scc1 .LBB12_128
; %bb.126:                              ;   in Loop: Header=BB12_117 Depth=1
	s_mov_b64 s[0:1], 0
	s_wait_xcnt 0x0
	s_mov_b64 s[14:15], 0
.LBB12_127:                             ;   Parent Loop BB12_117 Depth=1
                                        ; =>  This Inner Loop Header: Depth=2
	s_wait_xcnt 0x0
	s_add_nc_u64 s[18:19], s[12:13], s[14:15]
	s_add_nc_u64 s[14:15], s[14:15], 1
	global_load_u8 v3, v11, s[18:19]
	s_cmp_lg_u32 s16, s14
	s_wait_loadcnt 0x0
	v_and_b32_e32 v10, 0xffff, v3
	s_delay_alu instid0(VALU_DEP_1) | instskip(SKIP_1) | instid1(VALU_DEP_1)
	v_lshlrev_b64_e32 v[16:17], s0, v[10:11]
	s_add_nc_u64 s[0:1], s[0:1], 8
	v_or_b32_e32 v14, v16, v14
	s_delay_alu instid0(VALU_DEP_2)
	v_or_b32_e32 v15, v17, v15
	s_cbranch_scc1 .LBB12_127
.LBB12_128:                             ;   in Loop: Header=BB12_117 Depth=1
	s_wait_xcnt 0x0
	s_mov_b64 s[0:1], s[12:13]
	s_mov_b32 s17, 0
	s_cbranch_execz .LBB12_130
	s_branch .LBB12_131
.LBB12_129:                             ;   in Loop: Header=BB12_117 Depth=1
	s_add_nc_u64 s[0:1], s[12:13], 8
	s_wait_xcnt 0x0
                                        ; implicit-def: $vgpr14_vgpr15
	s_mov_b32 s17, 0
.LBB12_130:                             ;   in Loop: Header=BB12_117 Depth=1
	global_load_b64 v[14:15], v11, s[12:13]
	s_add_co_i32 s17, s16, -8
.LBB12_131:                             ;   in Loop: Header=BB12_117 Depth=1
	s_delay_alu instid0(SALU_CYCLE_1)
	s_cmp_gt_u32 s17, 7
	s_cbranch_scc1 .LBB12_136
; %bb.132:                              ;   in Loop: Header=BB12_117 Depth=1
	v_mov_b64_e32 v[16:17], 0
	s_cmp_eq_u32 s17, 0
	s_cbranch_scc1 .LBB12_135
; %bb.133:                              ;   in Loop: Header=BB12_117 Depth=1
	s_wait_xcnt 0x0
	s_mov_b64 s[12:13], 0
	s_mov_b64 s[14:15], 0
.LBB12_134:                             ;   Parent Loop BB12_117 Depth=1
                                        ; =>  This Inner Loop Header: Depth=2
	s_wait_xcnt 0x0
	s_add_nc_u64 s[18:19], s[0:1], s[14:15]
	s_add_nc_u64 s[14:15], s[14:15], 1
	global_load_u8 v3, v11, s[18:19]
	s_cmp_lg_u32 s17, s14
	s_wait_loadcnt 0x0
	v_and_b32_e32 v10, 0xffff, v3
	s_delay_alu instid0(VALU_DEP_1) | instskip(SKIP_1) | instid1(VALU_DEP_1)
	v_lshlrev_b64_e32 v[18:19], s12, v[10:11]
	s_add_nc_u64 s[12:13], s[12:13], 8
	v_or_b32_e32 v16, v18, v16
	s_delay_alu instid0(VALU_DEP_2)
	v_or_b32_e32 v17, v19, v17
	s_cbranch_scc1 .LBB12_134
.LBB12_135:                             ;   in Loop: Header=BB12_117 Depth=1
	s_wait_xcnt 0x0
	s_mov_b64 s[12:13], s[0:1]
	s_mov_b32 s16, 0
	s_cbranch_execz .LBB12_137
	s_branch .LBB12_138
.LBB12_136:                             ;   in Loop: Header=BB12_117 Depth=1
	s_wait_xcnt 0x0
	s_add_nc_u64 s[12:13], s[0:1], 8
	s_mov_b32 s16, 0
.LBB12_137:                             ;   in Loop: Header=BB12_117 Depth=1
	global_load_b64 v[16:17], v11, s[0:1]
	s_add_co_i32 s16, s17, -8
.LBB12_138:                             ;   in Loop: Header=BB12_117 Depth=1
	s_delay_alu instid0(SALU_CYCLE_1)
	s_cmp_gt_u32 s16, 7
	s_cbranch_scc1 .LBB12_143
; %bb.139:                              ;   in Loop: Header=BB12_117 Depth=1
	v_mov_b64_e32 v[18:19], 0
	s_cmp_eq_u32 s16, 0
	s_cbranch_scc1 .LBB12_142
; %bb.140:                              ;   in Loop: Header=BB12_117 Depth=1
	s_wait_xcnt 0x0
	s_mov_b64 s[0:1], 0
	s_mov_b64 s[14:15], 0
.LBB12_141:                             ;   Parent Loop BB12_117 Depth=1
                                        ; =>  This Inner Loop Header: Depth=2
	s_wait_xcnt 0x0
	s_add_nc_u64 s[18:19], s[12:13], s[14:15]
	s_add_nc_u64 s[14:15], s[14:15], 1
	global_load_u8 v3, v11, s[18:19]
	s_cmp_lg_u32 s16, s14
	s_wait_loadcnt 0x0
	v_and_b32_e32 v10, 0xffff, v3
	s_delay_alu instid0(VALU_DEP_1) | instskip(SKIP_1) | instid1(VALU_DEP_1)
	v_lshlrev_b64_e32 v[20:21], s0, v[10:11]
	s_add_nc_u64 s[0:1], s[0:1], 8
	v_or_b32_e32 v18, v20, v18
	s_delay_alu instid0(VALU_DEP_2)
	v_or_b32_e32 v19, v21, v19
	s_cbranch_scc1 .LBB12_141
.LBB12_142:                             ;   in Loop: Header=BB12_117 Depth=1
	s_wait_xcnt 0x0
	s_mov_b64 s[0:1], s[12:13]
	s_mov_b32 s17, 0
	s_cbranch_execz .LBB12_144
	s_branch .LBB12_145
.LBB12_143:                             ;   in Loop: Header=BB12_117 Depth=1
	s_wait_xcnt 0x0
	s_add_nc_u64 s[0:1], s[12:13], 8
                                        ; implicit-def: $vgpr18_vgpr19
	s_mov_b32 s17, 0
.LBB12_144:                             ;   in Loop: Header=BB12_117 Depth=1
	global_load_b64 v[18:19], v11, s[12:13]
	s_add_co_i32 s17, s16, -8
.LBB12_145:                             ;   in Loop: Header=BB12_117 Depth=1
	s_delay_alu instid0(SALU_CYCLE_1)
	s_cmp_gt_u32 s17, 7
	s_cbranch_scc1 .LBB12_150
; %bb.146:                              ;   in Loop: Header=BB12_117 Depth=1
	v_mov_b64_e32 v[20:21], 0
	s_cmp_eq_u32 s17, 0
	s_cbranch_scc1 .LBB12_149
; %bb.147:                              ;   in Loop: Header=BB12_117 Depth=1
	s_wait_xcnt 0x0
	s_mov_b64 s[12:13], 0
	s_mov_b64 s[14:15], 0
.LBB12_148:                             ;   Parent Loop BB12_117 Depth=1
                                        ; =>  This Inner Loop Header: Depth=2
	s_wait_xcnt 0x0
	s_add_nc_u64 s[18:19], s[0:1], s[14:15]
	s_add_nc_u64 s[14:15], s[14:15], 1
	global_load_u8 v3, v11, s[18:19]
	s_cmp_lg_u32 s17, s14
	s_wait_loadcnt 0x0
	v_and_b32_e32 v10, 0xffff, v3
	s_delay_alu instid0(VALU_DEP_1) | instskip(SKIP_1) | instid1(VALU_DEP_1)
	v_lshlrev_b64_e32 v[22:23], s12, v[10:11]
	s_add_nc_u64 s[12:13], s[12:13], 8
	v_or_b32_e32 v20, v22, v20
	s_delay_alu instid0(VALU_DEP_2)
	v_or_b32_e32 v21, v23, v21
	s_cbranch_scc1 .LBB12_148
.LBB12_149:                             ;   in Loop: Header=BB12_117 Depth=1
	s_wait_xcnt 0x0
	s_mov_b64 s[12:13], s[0:1]
	s_mov_b32 s16, 0
	s_cbranch_execz .LBB12_151
	s_branch .LBB12_152
.LBB12_150:                             ;   in Loop: Header=BB12_117 Depth=1
	s_wait_xcnt 0x0
	s_add_nc_u64 s[12:13], s[0:1], 8
	s_mov_b32 s16, 0
.LBB12_151:                             ;   in Loop: Header=BB12_117 Depth=1
	global_load_b64 v[20:21], v11, s[0:1]
	s_add_co_i32 s16, s17, -8
.LBB12_152:                             ;   in Loop: Header=BB12_117 Depth=1
	s_delay_alu instid0(SALU_CYCLE_1)
	s_cmp_gt_u32 s16, 7
	s_cbranch_scc1 .LBB12_157
; %bb.153:                              ;   in Loop: Header=BB12_117 Depth=1
	v_mov_b64_e32 v[22:23], 0
	s_cmp_eq_u32 s16, 0
	s_cbranch_scc1 .LBB12_156
; %bb.154:                              ;   in Loop: Header=BB12_117 Depth=1
	s_wait_xcnt 0x0
	s_mov_b64 s[0:1], 0
	s_mov_b64 s[14:15], 0
.LBB12_155:                             ;   Parent Loop BB12_117 Depth=1
                                        ; =>  This Inner Loop Header: Depth=2
	s_wait_xcnt 0x0
	s_add_nc_u64 s[18:19], s[12:13], s[14:15]
	s_add_nc_u64 s[14:15], s[14:15], 1
	global_load_u8 v3, v11, s[18:19]
	s_cmp_lg_u32 s16, s14
	s_wait_loadcnt 0x0
	v_and_b32_e32 v10, 0xffff, v3
	s_delay_alu instid0(VALU_DEP_1) | instskip(SKIP_1) | instid1(VALU_DEP_1)
	v_lshlrev_b64_e32 v[24:25], s0, v[10:11]
	s_add_nc_u64 s[0:1], s[0:1], 8
	v_or_b32_e32 v22, v24, v22
	s_delay_alu instid0(VALU_DEP_2)
	v_or_b32_e32 v23, v25, v23
	s_cbranch_scc1 .LBB12_155
.LBB12_156:                             ;   in Loop: Header=BB12_117 Depth=1
	s_wait_xcnt 0x0
	s_mov_b64 s[0:1], s[12:13]
	s_mov_b32 s17, 0
	s_cbranch_execz .LBB12_158
	s_branch .LBB12_159
.LBB12_157:                             ;   in Loop: Header=BB12_117 Depth=1
	s_wait_xcnt 0x0
	s_add_nc_u64 s[0:1], s[12:13], 8
                                        ; implicit-def: $vgpr22_vgpr23
	s_mov_b32 s17, 0
.LBB12_158:                             ;   in Loop: Header=BB12_117 Depth=1
	global_load_b64 v[22:23], v11, s[12:13]
	s_add_co_i32 s17, s16, -8
.LBB12_159:                             ;   in Loop: Header=BB12_117 Depth=1
	s_delay_alu instid0(SALU_CYCLE_1)
	s_cmp_gt_u32 s17, 7
	s_cbranch_scc1 .LBB12_164
; %bb.160:                              ;   in Loop: Header=BB12_117 Depth=1
	v_mov_b64_e32 v[24:25], 0
	s_cmp_eq_u32 s17, 0
	s_cbranch_scc1 .LBB12_163
; %bb.161:                              ;   in Loop: Header=BB12_117 Depth=1
	s_wait_xcnt 0x0
	s_mov_b64 s[12:13], 0
	s_mov_b64 s[14:15], s[0:1]
.LBB12_162:                             ;   Parent Loop BB12_117 Depth=1
                                        ; =>  This Inner Loop Header: Depth=2
	global_load_u8 v3, v11, s[14:15]
	s_add_co_i32 s17, s17, -1
	s_wait_xcnt 0x0
	s_add_nc_u64 s[14:15], s[14:15], 1
	s_cmp_lg_u32 s17, 0
	s_wait_loadcnt 0x0
	v_and_b32_e32 v10, 0xffff, v3
	s_delay_alu instid0(VALU_DEP_1) | instskip(SKIP_1) | instid1(VALU_DEP_1)
	v_lshlrev_b64_e32 v[26:27], s12, v[10:11]
	s_add_nc_u64 s[12:13], s[12:13], 8
	v_or_b32_e32 v24, v26, v24
	s_delay_alu instid0(VALU_DEP_2)
	v_or_b32_e32 v25, v27, v25
	s_cbranch_scc1 .LBB12_162
.LBB12_163:                             ;   in Loop: Header=BB12_117 Depth=1
	s_wait_xcnt 0x0
	s_cbranch_execz .LBB12_165
	s_branch .LBB12_166
.LBB12_164:                             ;   in Loop: Header=BB12_117 Depth=1
	s_wait_xcnt 0x0
.LBB12_165:                             ;   in Loop: Header=BB12_117 Depth=1
	global_load_b64 v[24:25], v11, s[0:1]
.LBB12_166:                             ;   in Loop: Header=BB12_117 Depth=1
	s_wait_xcnt 0x0
	v_readfirstlane_b32 s0, v48
	v_mov_b64_e32 v[32:33], 0
	s_delay_alu instid0(VALU_DEP_2)
	v_cmp_eq_u32_e64 s0, s0, v48
	s_and_saveexec_b32 s1, s0
	s_cbranch_execz .LBB12_172
; %bb.167:                              ;   in Loop: Header=BB12_117 Depth=1
	global_load_b64 v[28:29], v11, s[2:3] offset:24 scope:SCOPE_SYS
	s_wait_loadcnt 0x0
	global_inv scope:SCOPE_SYS
	s_clause 0x1
	global_load_b64 v[26:27], v11, s[2:3] offset:40
	global_load_b64 v[32:33], v11, s[2:3]
	s_mov_b32 s12, exec_lo
	s_wait_loadcnt 0x1
	v_and_b32_e32 v26, v26, v28
	v_and_b32_e32 v27, v27, v29
	s_delay_alu instid0(VALU_DEP_1) | instskip(SKIP_1) | instid1(VALU_DEP_1)
	v_mul_u64_e32 v[26:27], 24, v[26:27]
	s_wait_loadcnt 0x0
	v_add_nc_u64_e32 v[26:27], v[32:33], v[26:27]
	global_load_b64 v[26:27], v[26:27], off scope:SCOPE_SYS
	s_wait_xcnt 0x0
	s_wait_loadcnt 0x0
	global_atomic_cmpswap_b64 v[32:33], v11, v[26:29], s[2:3] offset:24 th:TH_ATOMIC_RETURN scope:SCOPE_SYS
	s_wait_loadcnt 0x0
	global_inv scope:SCOPE_SYS
	s_wait_xcnt 0x0
	v_cmpx_ne_u64_e64 v[32:33], v[28:29]
	s_cbranch_execz .LBB12_171
; %bb.168:                              ;   in Loop: Header=BB12_117 Depth=1
	s_mov_b32 s13, 0
.LBB12_169:                             ;   Parent Loop BB12_117 Depth=1
                                        ; =>  This Inner Loop Header: Depth=2
	s_sleep 1
	s_clause 0x1
	global_load_b64 v[26:27], v11, s[2:3] offset:40
	global_load_b64 v[34:35], v11, s[2:3]
	v_mov_b64_e32 v[28:29], v[32:33]
	s_wait_loadcnt 0x1
	s_delay_alu instid0(VALU_DEP_1) | instskip(SKIP_1) | instid1(VALU_DEP_1)
	v_and_b32_e32 v3, v26, v28
	s_wait_loadcnt 0x0
	v_mad_nc_u64_u32 v[32:33], v3, 24, v[34:35]
	s_delay_alu instid0(VALU_DEP_3) | instskip(NEXT) | instid1(VALU_DEP_1)
	v_and_b32_e32 v3, v27, v29
	v_mad_u32 v33, v3, 24, v33
	global_load_b64 v[26:27], v[32:33], off scope:SCOPE_SYS
	s_wait_xcnt 0x0
	s_wait_loadcnt 0x0
	global_atomic_cmpswap_b64 v[32:33], v11, v[26:29], s[2:3] offset:24 th:TH_ATOMIC_RETURN scope:SCOPE_SYS
	s_wait_loadcnt 0x0
	global_inv scope:SCOPE_SYS
	v_cmp_eq_u64_e32 vcc_lo, v[32:33], v[28:29]
	s_or_b32 s13, vcc_lo, s13
	s_wait_xcnt 0x0
	s_and_not1_b32 exec_lo, exec_lo, s13
	s_cbranch_execnz .LBB12_169
; %bb.170:                              ;   in Loop: Header=BB12_117 Depth=1
	s_or_b32 exec_lo, exec_lo, s13
.LBB12_171:                             ;   in Loop: Header=BB12_117 Depth=1
	s_delay_alu instid0(SALU_CYCLE_1)
	s_or_b32 exec_lo, exec_lo, s12
.LBB12_172:                             ;   in Loop: Header=BB12_117 Depth=1
	s_delay_alu instid0(SALU_CYCLE_1)
	s_or_b32 exec_lo, exec_lo, s1
	s_clause 0x1
	global_load_b64 v[34:35], v11, s[2:3] offset:40
	global_load_b128 v[26:29], v11, s[2:3]
	v_readfirstlane_b32 s12, v32
	v_readfirstlane_b32 s13, v33
	s_mov_b32 s1, exec_lo
	s_wait_loadcnt 0x1
	v_and_b32_e32 v34, s12, v34
	v_and_b32_e32 v35, s13, v35
	s_delay_alu instid0(VALU_DEP_1) | instskip(SKIP_1) | instid1(VALU_DEP_1)
	v_mul_u64_e32 v[32:33], 24, v[34:35]
	s_wait_loadcnt 0x0
	v_add_nc_u64_e32 v[32:33], v[26:27], v[32:33]
	s_wait_xcnt 0x0
	s_and_saveexec_b32 s14, s0
	s_cbranch_execz .LBB12_174
; %bb.173:                              ;   in Loop: Header=BB12_117 Depth=1
	v_mov_b32_e32 v10, s1
	global_store_b128 v[32:33], v[10:13], off offset:8
.LBB12_174:                             ;   in Loop: Header=BB12_117 Depth=1
	s_wait_xcnt 0x0
	s_or_b32 exec_lo, exec_lo, s14
	v_cmp_lt_u64_e64 vcc_lo, s[6:7], 57
	v_lshlrev_b64_e32 v[34:35], 12, v[34:35]
	v_and_b32_e32 v6, 0xffffff1f, v6
	s_lshl_b32 s1, s10, 2
	s_delay_alu instid0(SALU_CYCLE_1) | instskip(SKIP_1) | instid1(VALU_DEP_3)
	s_add_co_i32 s1, s1, 28
	v_cndmask_b32_e32 v3, 0, v2, vcc_lo
	v_add_nc_u64_e32 v[28:29], v[28:29], v[34:35]
	s_delay_alu instid0(VALU_DEP_2) | instskip(NEXT) | instid1(VALU_DEP_2)
	v_or_b32_e32 v3, v6, v3
	v_readfirstlane_b32 s14, v28
	s_delay_alu instid0(VALU_DEP_3) | instskip(NEXT) | instid1(VALU_DEP_3)
	v_readfirstlane_b32 s15, v29
	v_and_or_b32 v6, 0x1e0, s1, v3
	s_clause 0x3
	global_store_b128 v30, v[6:9], s[14:15]
	global_store_b128 v30, v[14:17], s[14:15] offset:16
	global_store_b128 v30, v[18:21], s[14:15] offset:32
	;; [unrolled: 1-line block ×3, first 2 shown]
	s_wait_xcnt 0x0
	s_and_saveexec_b32 s1, s0
	s_cbranch_execz .LBB12_182
; %bb.175:                              ;   in Loop: Header=BB12_117 Depth=1
	s_clause 0x1
	global_load_b64 v[18:19], v11, s[2:3] offset:32 scope:SCOPE_SYS
	global_load_b64 v[6:7], v11, s[2:3] offset:40
	s_mov_b32 s14, exec_lo
	v_dual_mov_b32 v16, s12 :: v_dual_mov_b32 v17, s13
	s_wait_loadcnt 0x0
	v_and_b32_e32 v7, s13, v7
	v_and_b32_e32 v6, s12, v6
	s_delay_alu instid0(VALU_DEP_1) | instskip(NEXT) | instid1(VALU_DEP_1)
	v_mul_u64_e32 v[6:7], 24, v[6:7]
	v_add_nc_u64_e32 v[14:15], v[26:27], v[6:7]
	global_store_b64 v[14:15], v[18:19], off
	global_wb scope:SCOPE_SYS
	s_wait_storecnt 0x0
	s_wait_xcnt 0x0
	global_atomic_cmpswap_b64 v[8:9], v11, v[16:19], s[2:3] offset:32 th:TH_ATOMIC_RETURN scope:SCOPE_SYS
	s_wait_loadcnt 0x0
	v_cmpx_ne_u64_e64 v[8:9], v[18:19]
	s_cbranch_execz .LBB12_178
; %bb.176:                              ;   in Loop: Header=BB12_117 Depth=1
	s_mov_b32 s15, 0
.LBB12_177:                             ;   Parent Loop BB12_117 Depth=1
                                        ; =>  This Inner Loop Header: Depth=2
	v_dual_mov_b32 v6, s12 :: v_dual_mov_b32 v7, s13
	s_sleep 1
	global_store_b64 v[14:15], v[8:9], off
	global_wb scope:SCOPE_SYS
	s_wait_storecnt 0x0
	s_wait_xcnt 0x0
	global_atomic_cmpswap_b64 v[6:7], v11, v[6:9], s[2:3] offset:32 th:TH_ATOMIC_RETURN scope:SCOPE_SYS
	s_wait_loadcnt 0x0
	v_cmp_eq_u64_e32 vcc_lo, v[6:7], v[8:9]
	v_mov_b64_e32 v[8:9], v[6:7]
	s_or_b32 s15, vcc_lo, s15
	s_delay_alu instid0(SALU_CYCLE_1)
	s_and_not1_b32 exec_lo, exec_lo, s15
	s_cbranch_execnz .LBB12_177
.LBB12_178:                             ;   in Loop: Header=BB12_117 Depth=1
	s_or_b32 exec_lo, exec_lo, s14
	global_load_b64 v[6:7], v11, s[2:3] offset:16
	s_mov_b32 s15, exec_lo
	s_mov_b32 s14, exec_lo
	v_mbcnt_lo_u32_b32 v3, s15, 0
	s_wait_xcnt 0x0
	s_delay_alu instid0(VALU_DEP_1)
	v_cmpx_eq_u32_e32 0, v3
	s_cbranch_execz .LBB12_180
; %bb.179:                              ;   in Loop: Header=BB12_117 Depth=1
	s_bcnt1_i32_b32 s15, s15
	s_delay_alu instid0(SALU_CYCLE_1)
	v_mov_b32_e32 v10, s15
	global_wb scope:SCOPE_SYS
	s_wait_loadcnt 0x0
	s_wait_storecnt 0x0
	global_atomic_add_u64 v[6:7], v[10:11], off offset:8 scope:SCOPE_SYS
.LBB12_180:                             ;   in Loop: Header=BB12_117 Depth=1
	s_wait_xcnt 0x0
	s_or_b32 exec_lo, exec_lo, s14
	s_wait_loadcnt 0x0
	global_load_b64 v[8:9], v[6:7], off offset:16
	s_wait_loadcnt 0x0
	v_cmp_eq_u64_e32 vcc_lo, 0, v[8:9]
	s_cbranch_vccnz .LBB12_182
; %bb.181:                              ;   in Loop: Header=BB12_117 Depth=1
	global_load_b32 v10, v[6:7], off offset:24
	s_wait_loadcnt 0x0
	v_readfirstlane_b32 s14, v10
	global_wb scope:SCOPE_SYS
	s_wait_storecnt 0x0
	s_wait_xcnt 0x0
	global_store_b64 v[8:9], v[10:11], off scope:SCOPE_SYS
	s_and_b32 m0, s14, 0xffffff
	s_sendmsg sendmsg(MSG_INTERRUPT)
.LBB12_182:                             ;   in Loop: Header=BB12_117 Depth=1
	s_wait_xcnt 0x0
	s_or_b32 exec_lo, exec_lo, s1
	v_mov_b32_e32 v31, v11
	s_delay_alu instid0(VALU_DEP_1)
	v_add_nc_u64_e32 v[6:7], v[28:29], v[30:31]
	s_branch .LBB12_186
.LBB12_183:                             ;   in Loop: Header=BB12_186 Depth=2
	s_wait_xcnt 0x0
	s_or_b32 exec_lo, exec_lo, s1
	s_delay_alu instid0(VALU_DEP_1)
	v_readfirstlane_b32 s1, v3
	s_cmp_eq_u32 s1, 0
	s_cbranch_scc1 .LBB12_185
; %bb.184:                              ;   in Loop: Header=BB12_186 Depth=2
	s_sleep 1
	s_cbranch_execnz .LBB12_186
	s_branch .LBB12_188
.LBB12_185:                             ;   in Loop: Header=BB12_117 Depth=1
	s_branch .LBB12_188
.LBB12_186:                             ;   Parent Loop BB12_117 Depth=1
                                        ; =>  This Inner Loop Header: Depth=2
	v_mov_b32_e32 v3, 1
	s_and_saveexec_b32 s1, s0
	s_cbranch_execz .LBB12_183
; %bb.187:                              ;   in Loop: Header=BB12_186 Depth=2
	global_load_b32 v3, v[32:33], off offset:20 scope:SCOPE_SYS
	s_wait_loadcnt 0x0
	global_inv scope:SCOPE_SYS
	v_and_b32_e32 v3, 1, v3
	s_branch .LBB12_183
.LBB12_188:                             ;   in Loop: Header=BB12_117 Depth=1
	global_load_b64 v[6:7], v[6:7], off
	s_wait_xcnt 0x0
	s_and_saveexec_b32 s14, s0
	s_cbranch_execz .LBB12_116
; %bb.189:                              ;   in Loop: Header=BB12_117 Depth=1
	s_clause 0x2
	global_load_b64 v[8:9], v11, s[2:3] offset:40
	global_load_b64 v[18:19], v11, s[2:3] offset:24 scope:SCOPE_SYS
	global_load_b64 v[14:15], v11, s[2:3]
	s_wait_loadcnt 0x2
	v_readfirstlane_b32 s16, v8
	v_readfirstlane_b32 s17, v9
	s_add_nc_u64 s[0:1], s[16:17], 1
	s_delay_alu instid0(SALU_CYCLE_1) | instskip(NEXT) | instid1(SALU_CYCLE_1)
	s_add_nc_u64 s[12:13], s[0:1], s[12:13]
	s_cmp_eq_u64 s[12:13], 0
	s_cselect_b32 s1, s1, s13
	s_cselect_b32 s0, s0, s12
	s_delay_alu instid0(SALU_CYCLE_1) | instskip(SKIP_1) | instid1(SALU_CYCLE_1)
	v_dual_mov_b32 v17, s1 :: v_dual_mov_b32 v16, s0
	s_and_b64 s[12:13], s[0:1], s[16:17]
	s_mul_u64 s[12:13], s[12:13], 24
	s_wait_loadcnt 0x0
	v_add_nc_u64_e32 v[8:9], s[12:13], v[14:15]
	global_store_b64 v[8:9], v[18:19], off
	global_wb scope:SCOPE_SYS
	s_wait_storecnt 0x0
	s_wait_xcnt 0x0
	global_atomic_cmpswap_b64 v[16:17], v11, v[16:19], s[2:3] offset:24 th:TH_ATOMIC_RETURN scope:SCOPE_SYS
	s_wait_loadcnt 0x0
	v_cmp_ne_u64_e32 vcc_lo, v[16:17], v[18:19]
	s_and_b32 exec_lo, exec_lo, vcc_lo
	s_cbranch_execz .LBB12_116
; %bb.190:                              ;   in Loop: Header=BB12_117 Depth=1
	s_mov_b32 s12, 0
.LBB12_191:                             ;   Parent Loop BB12_117 Depth=1
                                        ; =>  This Inner Loop Header: Depth=2
	v_dual_mov_b32 v14, s0 :: v_dual_mov_b32 v15, s1
	s_sleep 1
	global_store_b64 v[8:9], v[16:17], off
	global_wb scope:SCOPE_SYS
	s_wait_storecnt 0x0
	s_wait_xcnt 0x0
	global_atomic_cmpswap_b64 v[14:15], v11, v[14:17], s[2:3] offset:24 th:TH_ATOMIC_RETURN scope:SCOPE_SYS
	s_wait_loadcnt 0x0
	v_cmp_eq_u64_e32 vcc_lo, v[14:15], v[16:17]
	v_mov_b64_e32 v[16:17], v[14:15]
	s_or_b32 s12, vcc_lo, s12
	s_delay_alu instid0(SALU_CYCLE_1)
	s_and_not1_b32 exec_lo, exec_lo, s12
	s_cbranch_execnz .LBB12_191
	s_branch .LBB12_116
.LBB12_192:
	s_or_b32 exec_lo, exec_lo, s6
	s_branch .LBB12_114
.LBB12_193:
	v_readfirstlane_b32 s0, v48
	v_mov_b64_e32 v[8:9], 0
	s_delay_alu instid0(VALU_DEP_2)
	v_cmp_eq_u32_e64 s0, s0, v48
	s_and_saveexec_b32 s1, s0
	s_cbranch_execz .LBB12_199
; %bb.194:
	s_wait_loadcnt 0x0
	v_mov_b32_e32 v0, 0
	s_mov_b32 s4, exec_lo
	global_load_b64 v[10:11], v0, s[2:3] offset:24 scope:SCOPE_SYS
	s_wait_loadcnt 0x0
	global_inv scope:SCOPE_SYS
	s_clause 0x1
	global_load_b64 v[2:3], v0, s[2:3] offset:40
	global_load_b64 v[8:9], v0, s[2:3]
	s_wait_loadcnt 0x1
	v_and_b32_e32 v2, v2, v10
	v_and_b32_e32 v3, v3, v11
	s_delay_alu instid0(VALU_DEP_1) | instskip(SKIP_1) | instid1(VALU_DEP_1)
	v_mul_u64_e32 v[2:3], 24, v[2:3]
	s_wait_loadcnt 0x0
	v_add_nc_u64_e32 v[2:3], v[8:9], v[2:3]
	global_load_b64 v[8:9], v[2:3], off scope:SCOPE_SYS
	s_wait_xcnt 0x0
	s_wait_loadcnt 0x0
	global_atomic_cmpswap_b64 v[8:9], v0, v[8:11], s[2:3] offset:24 th:TH_ATOMIC_RETURN scope:SCOPE_SYS
	s_wait_loadcnt 0x0
	global_inv scope:SCOPE_SYS
	s_wait_xcnt 0x0
	v_cmpx_ne_u64_e64 v[8:9], v[10:11]
	s_cbranch_execz .LBB12_198
; %bb.195:
	s_mov_b32 s5, 0
.LBB12_196:                             ; =>This Inner Loop Header: Depth=1
	s_sleep 1
	s_clause 0x1
	global_load_b64 v[2:3], v0, s[2:3] offset:40
	global_load_b64 v[12:13], v0, s[2:3]
	v_mov_b64_e32 v[10:11], v[8:9]
	s_wait_loadcnt 0x1
	s_delay_alu instid0(VALU_DEP_1) | instskip(SKIP_1) | instid1(VALU_DEP_1)
	v_and_b32_e32 v1, v2, v10
	s_wait_loadcnt 0x0
	v_mad_nc_u64_u32 v[8:9], v1, 24, v[12:13]
	s_delay_alu instid0(VALU_DEP_3) | instskip(NEXT) | instid1(VALU_DEP_1)
	v_and_b32_e32 v1, v3, v11
	v_mad_u32 v9, v1, 24, v9
	global_load_b64 v[8:9], v[8:9], off scope:SCOPE_SYS
	s_wait_xcnt 0x0
	s_wait_loadcnt 0x0
	global_atomic_cmpswap_b64 v[8:9], v0, v[8:11], s[2:3] offset:24 th:TH_ATOMIC_RETURN scope:SCOPE_SYS
	s_wait_loadcnt 0x0
	global_inv scope:SCOPE_SYS
	v_cmp_eq_u64_e32 vcc_lo, v[8:9], v[10:11]
	s_or_b32 s5, vcc_lo, s5
	s_wait_xcnt 0x0
	s_and_not1_b32 exec_lo, exec_lo, s5
	s_cbranch_execnz .LBB12_196
; %bb.197:
	s_or_b32 exec_lo, exec_lo, s5
.LBB12_198:
	s_delay_alu instid0(SALU_CYCLE_1)
	s_or_b32 exec_lo, exec_lo, s4
.LBB12_199:
	s_delay_alu instid0(SALU_CYCLE_1)
	s_or_b32 exec_lo, exec_lo, s1
	v_readfirstlane_b32 s4, v8
	v_mov_b32_e32 v31, 0
	v_readfirstlane_b32 s5, v9
	s_mov_b32 s1, exec_lo
	global_load_b64 v[10:11], v31, s[2:3] offset:40
	s_wait_loadcnt 0x1
	global_load_b128 v[0:3], v31, s[2:3]
	s_wait_loadcnt 0x1
	v_and_b32_e32 v8, s4, v10
	v_and_b32_e32 v9, s5, v11
	s_delay_alu instid0(VALU_DEP_1) | instskip(SKIP_1) | instid1(VALU_DEP_1)
	v_mul_u64_e32 v[10:11], 24, v[8:9]
	s_wait_loadcnt 0x0
	v_add_nc_u64_e32 v[10:11], v[0:1], v[10:11]
	s_wait_xcnt 0x0
	s_and_saveexec_b32 s6, s0
	s_cbranch_execz .LBB12_201
; %bb.200:
	v_mov_b64_e32 v[14:15], 0x100000002
	v_dual_mov_b32 v12, s1 :: v_dual_mov_b32 v13, v31
	global_store_b128 v[10:11], v[12:15], off offset:8
.LBB12_201:
	s_wait_xcnt 0x0
	s_or_b32 exec_lo, exec_lo, s6
	v_lshlrev_b64_e32 v[8:9], 12, v[8:9]
	s_mov_b32 s12, 0
	v_and_or_b32 v6, 0xffffff1f, v6, 32
	s_mov_b32 s14, s12
	s_mov_b32 s15, s12
	s_mov_b32 s13, s12
	v_mov_b64_e32 v[16:17], s[14:15]
	v_add_nc_u64_e32 v[12:13], v[2:3], v[8:9]
	v_mov_b64_e32 v[14:15], s[12:13]
	v_dual_mov_b32 v8, v31 :: v_dual_mov_b32 v9, v31
	s_delay_alu instid0(VALU_DEP_3) | instskip(NEXT) | instid1(VALU_DEP_4)
	v_readfirstlane_b32 s6, v12
	v_readfirstlane_b32 s7, v13
	s_clause 0x3
	global_store_b128 v30, v[6:9], s[6:7]
	global_store_b128 v30, v[14:17], s[6:7] offset:16
	global_store_b128 v30, v[14:17], s[6:7] offset:32
	;; [unrolled: 1-line block ×3, first 2 shown]
	s_wait_xcnt 0x0
	s_and_saveexec_b32 s1, s0
	s_cbranch_execz .LBB12_209
; %bb.202:
	v_dual_mov_b32 v8, 0 :: v_dual_mov_b32 v15, s5
	s_mov_b32 s6, exec_lo
	s_clause 0x1
	global_load_b64 v[16:17], v8, s[2:3] offset:32 scope:SCOPE_SYS
	global_load_b64 v[2:3], v8, s[2:3] offset:40
	s_wait_loadcnt 0x0
	v_dual_mov_b32 v14, s4 :: v_dual_bitop2_b32 v3, s5, v3 bitop3:0x40
	v_and_b32_e32 v2, s4, v2
	s_delay_alu instid0(VALU_DEP_1) | instskip(NEXT) | instid1(VALU_DEP_1)
	v_mul_u64_e32 v[2:3], 24, v[2:3]
	v_add_nc_u64_e32 v[6:7], v[0:1], v[2:3]
	global_store_b64 v[6:7], v[16:17], off
	global_wb scope:SCOPE_SYS
	s_wait_storecnt 0x0
	s_wait_xcnt 0x0
	global_atomic_cmpswap_b64 v[2:3], v8, v[14:17], s[2:3] offset:32 th:TH_ATOMIC_RETURN scope:SCOPE_SYS
	s_wait_loadcnt 0x0
	v_cmpx_ne_u64_e64 v[2:3], v[16:17]
	s_cbranch_execz .LBB12_205
; %bb.203:
	s_mov_b32 s7, 0
.LBB12_204:                             ; =>This Inner Loop Header: Depth=1
	v_dual_mov_b32 v0, s4 :: v_dual_mov_b32 v1, s5
	s_sleep 1
	global_store_b64 v[6:7], v[2:3], off
	global_wb scope:SCOPE_SYS
	s_wait_storecnt 0x0
	s_wait_xcnt 0x0
	global_atomic_cmpswap_b64 v[0:1], v8, v[0:3], s[2:3] offset:32 th:TH_ATOMIC_RETURN scope:SCOPE_SYS
	s_wait_loadcnt 0x0
	v_cmp_eq_u64_e32 vcc_lo, v[0:1], v[2:3]
	v_mov_b64_e32 v[2:3], v[0:1]
	s_or_b32 s7, vcc_lo, s7
	s_delay_alu instid0(SALU_CYCLE_1)
	s_and_not1_b32 exec_lo, exec_lo, s7
	s_cbranch_execnz .LBB12_204
.LBB12_205:
	s_or_b32 exec_lo, exec_lo, s6
	v_mov_b32_e32 v3, 0
	s_mov_b32 s7, exec_lo
	s_mov_b32 s6, exec_lo
	v_mbcnt_lo_u32_b32 v2, s7, 0
	global_load_b64 v[0:1], v3, s[2:3] offset:16
	s_wait_xcnt 0x0
	v_cmpx_eq_u32_e32 0, v2
	s_cbranch_execz .LBB12_207
; %bb.206:
	s_bcnt1_i32_b32 s7, s7
	s_delay_alu instid0(SALU_CYCLE_1)
	v_mov_b32_e32 v2, s7
	global_wb scope:SCOPE_SYS
	s_wait_loadcnt 0x0
	s_wait_storecnt 0x0
	global_atomic_add_u64 v[0:1], v[2:3], off offset:8 scope:SCOPE_SYS
.LBB12_207:
	s_wait_xcnt 0x0
	s_or_b32 exec_lo, exec_lo, s6
	s_wait_loadcnt 0x0
	global_load_b64 v[2:3], v[0:1], off offset:16
	s_wait_loadcnt 0x0
	v_cmp_eq_u64_e32 vcc_lo, 0, v[2:3]
	s_cbranch_vccnz .LBB12_209
; %bb.208:
	global_load_b32 v0, v[0:1], off offset:24
	s_wait_xcnt 0x0
	v_mov_b32_e32 v1, 0
	s_wait_loadcnt 0x0
	v_readfirstlane_b32 s6, v0
	global_wb scope:SCOPE_SYS
	s_wait_storecnt 0x0
	global_store_b64 v[2:3], v[0:1], off scope:SCOPE_SYS
	s_and_b32 m0, s6, 0xffffff
	s_sendmsg sendmsg(MSG_INTERRUPT)
.LBB12_209:
	s_wait_xcnt 0x0
	s_or_b32 exec_lo, exec_lo, s1
	v_add_nc_u64_e32 v[0:1], v[12:13], v[30:31]
	s_branch .LBB12_213
.LBB12_210:                             ;   in Loop: Header=BB12_213 Depth=1
	s_wait_xcnt 0x0
	s_or_b32 exec_lo, exec_lo, s1
	s_delay_alu instid0(VALU_DEP_1)
	v_readfirstlane_b32 s1, v2
	s_cmp_eq_u32 s1, 0
	s_cbranch_scc1 .LBB12_212
; %bb.211:                              ;   in Loop: Header=BB12_213 Depth=1
	s_sleep 1
	s_cbranch_execnz .LBB12_213
	s_branch .LBB12_216
.LBB12_212:
	s_branch .LBB12_216
.LBB12_213:                             ; =>This Inner Loop Header: Depth=1
	v_mov_b32_e32 v2, 1
	s_and_saveexec_b32 s1, s0
	s_cbranch_execz .LBB12_210
; %bb.214:                              ;   in Loop: Header=BB12_213 Depth=1
	global_load_b32 v2, v[10:11], off offset:20 scope:SCOPE_SYS
	s_wait_loadcnt 0x0
	global_inv scope:SCOPE_SYS
	v_and_b32_e32 v2, 1, v2
	s_branch .LBB12_210
.LBB12_215:
	s_branch .LBB12_249
.LBB12_216:
	global_load_b64 v[0:1], v[0:1], off
	s_wait_xcnt 0x0
	s_and_saveexec_b32 s6, s0
	s_cbranch_execz .LBB12_220
; %bb.217:
	v_mov_b32_e32 v10, 0
	s_clause 0x2
	global_load_b64 v[2:3], v10, s[2:3] offset:40
	global_load_b64 v[14:15], v10, s[2:3] offset:24 scope:SCOPE_SYS
	global_load_b64 v[6:7], v10, s[2:3]
	s_wait_loadcnt 0x2
	v_readfirstlane_b32 s10, v2
	v_readfirstlane_b32 s11, v3
	s_add_nc_u64 s[0:1], s[10:11], 1
	s_delay_alu instid0(SALU_CYCLE_1) | instskip(NEXT) | instid1(SALU_CYCLE_1)
	s_add_nc_u64 s[4:5], s[0:1], s[4:5]
	s_cmp_eq_u64 s[4:5], 0
	s_cselect_b32 s1, s1, s5
	s_cselect_b32 s0, s0, s4
	v_mov_b32_e32 v13, s1
	s_and_b64 s[4:5], s[0:1], s[10:11]
	v_mov_b32_e32 v12, s0
	s_mul_u64 s[4:5], s[4:5], 24
	s_wait_loadcnt 0x0
	v_add_nc_u64_e32 v[2:3], s[4:5], v[6:7]
	global_store_b64 v[2:3], v[14:15], off
	global_wb scope:SCOPE_SYS
	s_wait_storecnt 0x0
	s_wait_xcnt 0x0
	global_atomic_cmpswap_b64 v[8:9], v10, v[12:15], s[2:3] offset:24 th:TH_ATOMIC_RETURN scope:SCOPE_SYS
	s_wait_loadcnt 0x0
	v_cmp_ne_u64_e32 vcc_lo, v[8:9], v[14:15]
	s_and_b32 exec_lo, exec_lo, vcc_lo
	s_cbranch_execz .LBB12_220
; %bb.218:
	s_mov_b32 s4, 0
.LBB12_219:                             ; =>This Inner Loop Header: Depth=1
	v_dual_mov_b32 v6, s0 :: v_dual_mov_b32 v7, s1
	s_sleep 1
	global_store_b64 v[2:3], v[8:9], off
	global_wb scope:SCOPE_SYS
	s_wait_storecnt 0x0
	s_wait_xcnt 0x0
	global_atomic_cmpswap_b64 v[6:7], v10, v[6:9], s[2:3] offset:24 th:TH_ATOMIC_RETURN scope:SCOPE_SYS
	s_wait_loadcnt 0x0
	v_cmp_eq_u64_e32 vcc_lo, v[6:7], v[8:9]
	v_mov_b64_e32 v[8:9], v[6:7]
	s_or_b32 s4, vcc_lo, s4
	s_delay_alu instid0(SALU_CYCLE_1)
	s_and_not1_b32 exec_lo, exec_lo, s4
	s_cbranch_execnz .LBB12_219
.LBB12_220:
	s_or_b32 exec_lo, exec_lo, s6
	s_get_pc_i64 s[4:5]
	s_add_nc_u64 s[4:5], s[4:5], .str.6@rel64+4
	s_delay_alu instid0(SALU_CYCLE_1)
	s_cmp_lg_u64 s[4:5], 0
	s_cbranch_scc1 .LBB12_115
.LBB12_221:
                                        ; implicit-def: $vgpr6_vgpr7
	s_cbranch_execz .LBB12_249
; %bb.222:
	v_readfirstlane_b32 s0, v48
	v_mov_b64_e32 v[2:3], 0
	s_delay_alu instid0(VALU_DEP_2)
	v_cmp_eq_u32_e64 s0, s0, v48
	s_and_saveexec_b32 s1, s0
	s_cbranch_execz .LBB12_228
; %bb.223:
	s_wait_loadcnt 0x0
	v_mov_b32_e32 v6, 0
	s_mov_b32 s4, exec_lo
	global_load_b64 v[10:11], v6, s[2:3] offset:24 scope:SCOPE_SYS
	s_wait_loadcnt 0x0
	global_inv scope:SCOPE_SYS
	s_clause 0x1
	global_load_b64 v[2:3], v6, s[2:3] offset:40
	global_load_b64 v[8:9], v6, s[2:3]
	s_wait_loadcnt 0x1
	v_and_b32_e32 v2, v2, v10
	v_and_b32_e32 v3, v3, v11
	s_delay_alu instid0(VALU_DEP_1) | instskip(SKIP_1) | instid1(VALU_DEP_1)
	v_mul_u64_e32 v[2:3], 24, v[2:3]
	s_wait_loadcnt 0x0
	v_add_nc_u64_e32 v[2:3], v[8:9], v[2:3]
	global_load_b64 v[8:9], v[2:3], off scope:SCOPE_SYS
	s_wait_xcnt 0x0
	s_wait_loadcnt 0x0
	global_atomic_cmpswap_b64 v[2:3], v6, v[8:11], s[2:3] offset:24 th:TH_ATOMIC_RETURN scope:SCOPE_SYS
	s_wait_loadcnt 0x0
	global_inv scope:SCOPE_SYS
	s_wait_xcnt 0x0
	v_cmpx_ne_u64_e64 v[2:3], v[10:11]
	s_cbranch_execz .LBB12_227
; %bb.224:
	s_mov_b32 s5, 0
.LBB12_225:                             ; =>This Inner Loop Header: Depth=1
	s_sleep 1
	s_clause 0x1
	global_load_b64 v[8:9], v6, s[2:3] offset:40
	global_load_b64 v[12:13], v6, s[2:3]
	v_mov_b64_e32 v[10:11], v[2:3]
	s_wait_loadcnt 0x1
	s_delay_alu instid0(VALU_DEP_1) | instskip(NEXT) | instid1(VALU_DEP_2)
	v_and_b32_e32 v2, v8, v10
	v_and_b32_e32 v7, v9, v11
	s_wait_loadcnt 0x0
	s_delay_alu instid0(VALU_DEP_2) | instskip(NEXT) | instid1(VALU_DEP_1)
	v_mad_nc_u64_u32 v[2:3], v2, 24, v[12:13]
	v_mad_u32 v3, v7, 24, v3
	global_load_b64 v[8:9], v[2:3], off scope:SCOPE_SYS
	s_wait_xcnt 0x0
	s_wait_loadcnt 0x0
	global_atomic_cmpswap_b64 v[2:3], v6, v[8:11], s[2:3] offset:24 th:TH_ATOMIC_RETURN scope:SCOPE_SYS
	s_wait_loadcnt 0x0
	global_inv scope:SCOPE_SYS
	v_cmp_eq_u64_e32 vcc_lo, v[2:3], v[10:11]
	s_or_b32 s5, vcc_lo, s5
	s_wait_xcnt 0x0
	s_and_not1_b32 exec_lo, exec_lo, s5
	s_cbranch_execnz .LBB12_225
; %bb.226:
	s_or_b32 exec_lo, exec_lo, s5
.LBB12_227:
	s_delay_alu instid0(SALU_CYCLE_1)
	s_or_b32 exec_lo, exec_lo, s4
.LBB12_228:
	s_delay_alu instid0(SALU_CYCLE_1)
	s_or_b32 exec_lo, exec_lo, s1
	v_readfirstlane_b32 s4, v2
	v_mov_b32_e32 v31, 0
	v_readfirstlane_b32 s5, v3
	s_mov_b32 s1, exec_lo
	global_load_b64 v[10:11], v31, s[2:3] offset:40
	s_wait_loadcnt 0x1
	global_load_b128 v[6:9], v31, s[2:3]
	s_wait_loadcnt 0x1
	v_and_b32_e32 v2, s4, v10
	v_and_b32_e32 v3, s5, v11
	s_delay_alu instid0(VALU_DEP_1) | instskip(SKIP_1) | instid1(VALU_DEP_1)
	v_mul_u64_e32 v[10:11], 24, v[2:3]
	s_wait_loadcnt 0x0
	v_add_nc_u64_e32 v[10:11], v[6:7], v[10:11]
	s_wait_xcnt 0x0
	s_and_saveexec_b32 s6, s0
	s_cbranch_execz .LBB12_230
; %bb.229:
	v_mov_b64_e32 v[14:15], 0x100000002
	v_dual_mov_b32 v12, s1 :: v_dual_mov_b32 v13, v31
	global_store_b128 v[10:11], v[12:15], off offset:8
.LBB12_230:
	s_wait_xcnt 0x0
	s_or_b32 exec_lo, exec_lo, s6
	v_lshlrev_b64_e32 v[2:3], 12, v[2:3]
	s_mov_b32 s12, 0
	v_and_or_b32 v0, 0xffffff1f, v0, 32
	s_mov_b32 s13, s12
	s_mov_b32 s14, s12
	;; [unrolled: 1-line block ×3, first 2 shown]
	v_mov_b64_e32 v[12:13], s[12:13]
	v_add_nc_u64_e32 v[8:9], v[8:9], v[2:3]
	v_mov_b64_e32 v[14:15], s[14:15]
	v_dual_mov_b32 v2, v31 :: v_dual_mov_b32 v3, v31
	s_delay_alu instid0(VALU_DEP_3) | instskip(NEXT) | instid1(VALU_DEP_4)
	v_readfirstlane_b32 s6, v8
	v_readfirstlane_b32 s7, v9
	s_clause 0x3
	global_store_b128 v30, v[0:3], s[6:7]
	global_store_b128 v30, v[12:15], s[6:7] offset:16
	global_store_b128 v30, v[12:15], s[6:7] offset:32
	;; [unrolled: 1-line block ×3, first 2 shown]
	s_wait_xcnt 0x0
	s_and_saveexec_b32 s1, s0
	s_cbranch_execz .LBB12_238
; %bb.231:
	v_dual_mov_b32 v12, 0 :: v_dual_mov_b32 v15, s5
	s_mov_b32 s6, exec_lo
	s_clause 0x1
	global_load_b64 v[16:17], v12, s[2:3] offset:32 scope:SCOPE_SYS
	global_load_b64 v[0:1], v12, s[2:3] offset:40
	s_wait_loadcnt 0x0
	v_dual_mov_b32 v14, s4 :: v_dual_bitop2_b32 v1, s5, v1 bitop3:0x40
	v_and_b32_e32 v0, s4, v0
	s_delay_alu instid0(VALU_DEP_1) | instskip(NEXT) | instid1(VALU_DEP_1)
	v_mul_u64_e32 v[0:1], 24, v[0:1]
	v_add_nc_u64_e32 v[6:7], v[6:7], v[0:1]
	global_store_b64 v[6:7], v[16:17], off
	global_wb scope:SCOPE_SYS
	s_wait_storecnt 0x0
	s_wait_xcnt 0x0
	global_atomic_cmpswap_b64 v[2:3], v12, v[14:17], s[2:3] offset:32 th:TH_ATOMIC_RETURN scope:SCOPE_SYS
	s_wait_loadcnt 0x0
	v_cmpx_ne_u64_e64 v[2:3], v[16:17]
	s_cbranch_execz .LBB12_234
; %bb.232:
	s_mov_b32 s7, 0
.LBB12_233:                             ; =>This Inner Loop Header: Depth=1
	v_dual_mov_b32 v0, s4 :: v_dual_mov_b32 v1, s5
	s_sleep 1
	global_store_b64 v[6:7], v[2:3], off
	global_wb scope:SCOPE_SYS
	s_wait_storecnt 0x0
	s_wait_xcnt 0x0
	global_atomic_cmpswap_b64 v[0:1], v12, v[0:3], s[2:3] offset:32 th:TH_ATOMIC_RETURN scope:SCOPE_SYS
	s_wait_loadcnt 0x0
	v_cmp_eq_u64_e32 vcc_lo, v[0:1], v[2:3]
	v_mov_b64_e32 v[2:3], v[0:1]
	s_or_b32 s7, vcc_lo, s7
	s_delay_alu instid0(SALU_CYCLE_1)
	s_and_not1_b32 exec_lo, exec_lo, s7
	s_cbranch_execnz .LBB12_233
.LBB12_234:
	s_or_b32 exec_lo, exec_lo, s6
	v_mov_b32_e32 v3, 0
	s_mov_b32 s7, exec_lo
	s_mov_b32 s6, exec_lo
	v_mbcnt_lo_u32_b32 v2, s7, 0
	global_load_b64 v[0:1], v3, s[2:3] offset:16
	s_wait_xcnt 0x0
	v_cmpx_eq_u32_e32 0, v2
	s_cbranch_execz .LBB12_236
; %bb.235:
	s_bcnt1_i32_b32 s7, s7
	s_delay_alu instid0(SALU_CYCLE_1)
	v_mov_b32_e32 v2, s7
	global_wb scope:SCOPE_SYS
	s_wait_loadcnt 0x0
	s_wait_storecnt 0x0
	global_atomic_add_u64 v[0:1], v[2:3], off offset:8 scope:SCOPE_SYS
.LBB12_236:
	s_wait_xcnt 0x0
	s_or_b32 exec_lo, exec_lo, s6
	s_wait_loadcnt 0x0
	global_load_b64 v[2:3], v[0:1], off offset:16
	s_wait_loadcnt 0x0
	v_cmp_eq_u64_e32 vcc_lo, 0, v[2:3]
	s_cbranch_vccnz .LBB12_238
; %bb.237:
	global_load_b32 v0, v[0:1], off offset:24
	s_wait_xcnt 0x0
	v_mov_b32_e32 v1, 0
	s_wait_loadcnt 0x0
	v_readfirstlane_b32 s6, v0
	global_wb scope:SCOPE_SYS
	s_wait_storecnt 0x0
	global_store_b64 v[2:3], v[0:1], off scope:SCOPE_SYS
	s_and_b32 m0, s6, 0xffffff
	s_sendmsg sendmsg(MSG_INTERRUPT)
.LBB12_238:
	s_wait_xcnt 0x0
	s_or_b32 exec_lo, exec_lo, s1
	v_add_nc_u64_e32 v[0:1], v[8:9], v[30:31]
	s_branch .LBB12_242
.LBB12_239:                             ;   in Loop: Header=BB12_242 Depth=1
	s_wait_xcnt 0x0
	s_or_b32 exec_lo, exec_lo, s1
	s_delay_alu instid0(VALU_DEP_1)
	v_readfirstlane_b32 s1, v2
	s_cmp_eq_u32 s1, 0
	s_cbranch_scc1 .LBB12_241
; %bb.240:                              ;   in Loop: Header=BB12_242 Depth=1
	s_sleep 1
	s_cbranch_execnz .LBB12_242
	s_branch .LBB12_244
.LBB12_241:
	s_branch .LBB12_244
.LBB12_242:                             ; =>This Inner Loop Header: Depth=1
	v_mov_b32_e32 v2, 1
	s_and_saveexec_b32 s1, s0
	s_cbranch_execz .LBB12_239
; %bb.243:                              ;   in Loop: Header=BB12_242 Depth=1
	global_load_b32 v2, v[10:11], off offset:20 scope:SCOPE_SYS
	s_wait_loadcnt 0x0
	global_inv scope:SCOPE_SYS
	v_and_b32_e32 v2, 1, v2
	s_branch .LBB12_239
.LBB12_244:
	global_load_b64 v[6:7], v[0:1], off
	s_wait_xcnt 0x0
	s_and_saveexec_b32 s6, s0
	s_cbranch_execz .LBB12_248
; %bb.245:
	v_mov_b32_e32 v10, 0
	s_clause 0x2
	global_load_b64 v[0:1], v10, s[2:3] offset:40
	global_load_b64 v[14:15], v10, s[2:3] offset:24 scope:SCOPE_SYS
	global_load_b64 v[2:3], v10, s[2:3]
	s_wait_loadcnt 0x2
	v_readfirstlane_b32 s10, v0
	v_readfirstlane_b32 s11, v1
	s_add_nc_u64 s[0:1], s[10:11], 1
	s_delay_alu instid0(SALU_CYCLE_1) | instskip(NEXT) | instid1(SALU_CYCLE_1)
	s_add_nc_u64 s[4:5], s[0:1], s[4:5]
	s_cmp_eq_u64 s[4:5], 0
	s_cselect_b32 s1, s1, s5
	s_cselect_b32 s0, s0, s4
	v_mov_b32_e32 v13, s1
	s_and_b64 s[4:5], s[0:1], s[10:11]
	v_mov_b32_e32 v12, s0
	s_mul_u64 s[4:5], s[4:5], 24
	s_wait_loadcnt 0x0
	v_add_nc_u64_e32 v[8:9], s[4:5], v[2:3]
	global_store_b64 v[8:9], v[14:15], off
	global_wb scope:SCOPE_SYS
	s_wait_storecnt 0x0
	s_wait_xcnt 0x0
	global_atomic_cmpswap_b64 v[2:3], v10, v[12:15], s[2:3] offset:24 th:TH_ATOMIC_RETURN scope:SCOPE_SYS
	s_wait_loadcnt 0x0
	v_cmp_ne_u64_e32 vcc_lo, v[2:3], v[14:15]
	s_and_b32 exec_lo, exec_lo, vcc_lo
	s_cbranch_execz .LBB12_248
; %bb.246:
	s_mov_b32 s4, 0
.LBB12_247:                             ; =>This Inner Loop Header: Depth=1
	v_dual_mov_b32 v0, s0 :: v_dual_mov_b32 v1, s1
	s_sleep 1
	global_store_b64 v[8:9], v[2:3], off
	global_wb scope:SCOPE_SYS
	s_wait_storecnt 0x0
	s_wait_xcnt 0x0
	global_atomic_cmpswap_b64 v[0:1], v10, v[0:3], s[2:3] offset:24 th:TH_ATOMIC_RETURN scope:SCOPE_SYS
	s_wait_loadcnt 0x0
	v_cmp_eq_u64_e32 vcc_lo, v[0:1], v[2:3]
	v_mov_b64_e32 v[2:3], v[0:1]
	s_or_b32 s4, vcc_lo, s4
	s_delay_alu instid0(SALU_CYCLE_1)
	s_and_not1_b32 exec_lo, exec_lo, s4
	s_cbranch_execnz .LBB12_247
.LBB12_248:
	s_or_b32 exec_lo, exec_lo, s6
.LBB12_249:
	v_readfirstlane_b32 s0, v48
	v_mov_b64_e32 v[8:9], 0
	s_delay_alu instid0(VALU_DEP_2)
	v_cmp_eq_u32_e64 s0, s0, v48
	s_and_saveexec_b32 s1, s0
	s_cbranch_execz .LBB12_255
; %bb.250:
	s_wait_loadcnt 0x0
	v_mov_b32_e32 v0, 0
	s_mov_b32 s4, exec_lo
	global_load_b64 v[10:11], v0, s[2:3] offset:24 scope:SCOPE_SYS
	s_wait_loadcnt 0x0
	global_inv scope:SCOPE_SYS
	s_clause 0x1
	global_load_b64 v[2:3], v0, s[2:3] offset:40
	global_load_b64 v[8:9], v0, s[2:3]
	s_wait_loadcnt 0x1
	v_and_b32_e32 v2, v2, v10
	v_and_b32_e32 v3, v3, v11
	s_delay_alu instid0(VALU_DEP_1) | instskip(SKIP_1) | instid1(VALU_DEP_1)
	v_mul_u64_e32 v[2:3], 24, v[2:3]
	s_wait_loadcnt 0x0
	v_add_nc_u64_e32 v[2:3], v[8:9], v[2:3]
	global_load_b64 v[8:9], v[2:3], off scope:SCOPE_SYS
	s_wait_xcnt 0x0
	s_wait_loadcnt 0x0
	global_atomic_cmpswap_b64 v[8:9], v0, v[8:11], s[2:3] offset:24 th:TH_ATOMIC_RETURN scope:SCOPE_SYS
	s_wait_loadcnt 0x0
	global_inv scope:SCOPE_SYS
	s_wait_xcnt 0x0
	v_cmpx_ne_u64_e64 v[8:9], v[10:11]
	s_cbranch_execz .LBB12_254
; %bb.251:
	s_mov_b32 s5, 0
.LBB12_252:                             ; =>This Inner Loop Header: Depth=1
	s_sleep 1
	s_clause 0x1
	global_load_b64 v[2:3], v0, s[2:3] offset:40
	global_load_b64 v[12:13], v0, s[2:3]
	v_mov_b64_e32 v[10:11], v[8:9]
	s_wait_loadcnt 0x1
	s_delay_alu instid0(VALU_DEP_1) | instskip(SKIP_1) | instid1(VALU_DEP_1)
	v_and_b32_e32 v1, v2, v10
	s_wait_loadcnt 0x0
	v_mad_nc_u64_u32 v[8:9], v1, 24, v[12:13]
	s_delay_alu instid0(VALU_DEP_3) | instskip(NEXT) | instid1(VALU_DEP_1)
	v_and_b32_e32 v1, v3, v11
	v_mad_u32 v9, v1, 24, v9
	global_load_b64 v[8:9], v[8:9], off scope:SCOPE_SYS
	s_wait_xcnt 0x0
	s_wait_loadcnt 0x0
	global_atomic_cmpswap_b64 v[8:9], v0, v[8:11], s[2:3] offset:24 th:TH_ATOMIC_RETURN scope:SCOPE_SYS
	s_wait_loadcnt 0x0
	global_inv scope:SCOPE_SYS
	v_cmp_eq_u64_e32 vcc_lo, v[8:9], v[10:11]
	s_or_b32 s5, vcc_lo, s5
	s_wait_xcnt 0x0
	s_and_not1_b32 exec_lo, exec_lo, s5
	s_cbranch_execnz .LBB12_252
; %bb.253:
	s_or_b32 exec_lo, exec_lo, s5
.LBB12_254:
	s_delay_alu instid0(SALU_CYCLE_1)
	s_or_b32 exec_lo, exec_lo, s4
.LBB12_255:
	s_delay_alu instid0(SALU_CYCLE_1)
	s_or_b32 exec_lo, exec_lo, s1
	v_readfirstlane_b32 s4, v8
	v_mov_b32_e32 v31, 0
	v_readfirstlane_b32 s5, v9
	s_mov_b32 s1, exec_lo
	global_load_b64 v[10:11], v31, s[2:3] offset:40
	s_wait_loadcnt 0x1
	global_load_b128 v[0:3], v31, s[2:3]
	s_wait_loadcnt 0x1
	v_and_b32_e32 v8, s4, v10
	v_and_b32_e32 v9, s5, v11
	s_delay_alu instid0(VALU_DEP_1) | instskip(SKIP_1) | instid1(VALU_DEP_1)
	v_mul_u64_e32 v[10:11], 24, v[8:9]
	s_wait_loadcnt 0x0
	v_add_nc_u64_e32 v[10:11], v[0:1], v[10:11]
	s_wait_xcnt 0x0
	s_and_saveexec_b32 s6, s0
	s_cbranch_execz .LBB12_257
; %bb.256:
	v_mov_b64_e32 v[14:15], 0x100000002
	v_dual_mov_b32 v12, s1 :: v_dual_mov_b32 v13, v31
	global_store_b128 v[10:11], v[12:15], off offset:8
.LBB12_257:
	s_wait_xcnt 0x0
	s_or_b32 exec_lo, exec_lo, s6
	v_lshlrev_b64_e32 v[8:9], 12, v[8:9]
	s_mov_b32 s12, 0
	v_and_or_b32 v6, 0xffffff1f, v6, 32
	s_mov_b32 s14, s12
	s_mov_b32 s15, s12
	;; [unrolled: 1-line block ×3, first 2 shown]
	v_mov_b64_e32 v[16:17], s[14:15]
	v_add_nc_u64_e32 v[12:13], v[2:3], v[8:9]
	v_mov_b64_e32 v[14:15], s[12:13]
	v_dual_mov_b32 v8, 0x13e :: v_dual_mov_b32 v9, v31
	s_delay_alu instid0(VALU_DEP_3) | instskip(NEXT) | instid1(VALU_DEP_4)
	v_readfirstlane_b32 s6, v12
	v_readfirstlane_b32 s7, v13
	s_clause 0x3
	global_store_b128 v30, v[6:9], s[6:7]
	global_store_b128 v30, v[14:17], s[6:7] offset:16
	global_store_b128 v30, v[14:17], s[6:7] offset:32
	;; [unrolled: 1-line block ×3, first 2 shown]
	s_wait_xcnt 0x0
	s_and_saveexec_b32 s1, s0
	s_cbranch_execz .LBB12_265
; %bb.258:
	v_dual_mov_b32 v8, 0 :: v_dual_mov_b32 v15, s5
	s_mov_b32 s6, exec_lo
	s_clause 0x1
	global_load_b64 v[16:17], v8, s[2:3] offset:32 scope:SCOPE_SYS
	global_load_b64 v[2:3], v8, s[2:3] offset:40
	s_wait_loadcnt 0x0
	v_dual_mov_b32 v14, s4 :: v_dual_bitop2_b32 v3, s5, v3 bitop3:0x40
	v_and_b32_e32 v2, s4, v2
	s_delay_alu instid0(VALU_DEP_1) | instskip(NEXT) | instid1(VALU_DEP_1)
	v_mul_u64_e32 v[2:3], 24, v[2:3]
	v_add_nc_u64_e32 v[6:7], v[0:1], v[2:3]
	global_store_b64 v[6:7], v[16:17], off
	global_wb scope:SCOPE_SYS
	s_wait_storecnt 0x0
	s_wait_xcnt 0x0
	global_atomic_cmpswap_b64 v[2:3], v8, v[14:17], s[2:3] offset:32 th:TH_ATOMIC_RETURN scope:SCOPE_SYS
	s_wait_loadcnt 0x0
	v_cmpx_ne_u64_e64 v[2:3], v[16:17]
	s_cbranch_execz .LBB12_261
; %bb.259:
	s_mov_b32 s7, 0
.LBB12_260:                             ; =>This Inner Loop Header: Depth=1
	v_dual_mov_b32 v0, s4 :: v_dual_mov_b32 v1, s5
	s_sleep 1
	global_store_b64 v[6:7], v[2:3], off
	global_wb scope:SCOPE_SYS
	s_wait_storecnt 0x0
	s_wait_xcnt 0x0
	global_atomic_cmpswap_b64 v[0:1], v8, v[0:3], s[2:3] offset:32 th:TH_ATOMIC_RETURN scope:SCOPE_SYS
	s_wait_loadcnt 0x0
	v_cmp_eq_u64_e32 vcc_lo, v[0:1], v[2:3]
	v_mov_b64_e32 v[2:3], v[0:1]
	s_or_b32 s7, vcc_lo, s7
	s_delay_alu instid0(SALU_CYCLE_1)
	s_and_not1_b32 exec_lo, exec_lo, s7
	s_cbranch_execnz .LBB12_260
.LBB12_261:
	s_or_b32 exec_lo, exec_lo, s6
	v_mov_b32_e32 v3, 0
	s_mov_b32 s7, exec_lo
	s_mov_b32 s6, exec_lo
	v_mbcnt_lo_u32_b32 v2, s7, 0
	global_load_b64 v[0:1], v3, s[2:3] offset:16
	s_wait_xcnt 0x0
	v_cmpx_eq_u32_e32 0, v2
	s_cbranch_execz .LBB12_263
; %bb.262:
	s_bcnt1_i32_b32 s7, s7
	s_delay_alu instid0(SALU_CYCLE_1)
	v_mov_b32_e32 v2, s7
	global_wb scope:SCOPE_SYS
	s_wait_loadcnt 0x0
	s_wait_storecnt 0x0
	global_atomic_add_u64 v[0:1], v[2:3], off offset:8 scope:SCOPE_SYS
.LBB12_263:
	s_wait_xcnt 0x0
	s_or_b32 exec_lo, exec_lo, s6
	s_wait_loadcnt 0x0
	global_load_b64 v[2:3], v[0:1], off offset:16
	s_wait_loadcnt 0x0
	v_cmp_eq_u64_e32 vcc_lo, 0, v[2:3]
	s_cbranch_vccnz .LBB12_265
; %bb.264:
	global_load_b32 v0, v[0:1], off offset:24
	s_wait_xcnt 0x0
	v_mov_b32_e32 v1, 0
	s_wait_loadcnt 0x0
	v_readfirstlane_b32 s6, v0
	global_wb scope:SCOPE_SYS
	s_wait_storecnt 0x0
	global_store_b64 v[2:3], v[0:1], off scope:SCOPE_SYS
	s_and_b32 m0, s6, 0xffffff
	s_sendmsg sendmsg(MSG_INTERRUPT)
.LBB12_265:
	s_wait_xcnt 0x0
	s_or_b32 exec_lo, exec_lo, s1
	v_add_nc_u64_e32 v[0:1], v[12:13], v[30:31]
	s_branch .LBB12_269
.LBB12_266:                             ;   in Loop: Header=BB12_269 Depth=1
	s_wait_xcnt 0x0
	s_or_b32 exec_lo, exec_lo, s1
	s_delay_alu instid0(VALU_DEP_1)
	v_readfirstlane_b32 s1, v2
	s_cmp_eq_u32 s1, 0
	s_cbranch_scc1 .LBB12_268
; %bb.267:                              ;   in Loop: Header=BB12_269 Depth=1
	s_sleep 1
	s_cbranch_execnz .LBB12_269
	s_branch .LBB12_271
.LBB12_268:
	s_branch .LBB12_271
.LBB12_269:                             ; =>This Inner Loop Header: Depth=1
	v_mov_b32_e32 v2, 1
	s_and_saveexec_b32 s1, s0
	s_cbranch_execz .LBB12_266
; %bb.270:                              ;   in Loop: Header=BB12_269 Depth=1
	global_load_b32 v2, v[10:11], off offset:20 scope:SCOPE_SYS
	s_wait_loadcnt 0x0
	global_inv scope:SCOPE_SYS
	v_and_b32_e32 v2, 1, v2
	s_branch .LBB12_266
.LBB12_271:
	global_load_b64 v[0:1], v[0:1], off
	s_wait_xcnt 0x0
	s_and_saveexec_b32 s6, s0
	s_cbranch_execz .LBB12_275
; %bb.272:
	v_mov_b32_e32 v10, 0
	s_clause 0x2
	global_load_b64 v[2:3], v10, s[2:3] offset:40
	global_load_b64 v[14:15], v10, s[2:3] offset:24 scope:SCOPE_SYS
	global_load_b64 v[6:7], v10, s[2:3]
	s_wait_loadcnt 0x2
	v_readfirstlane_b32 s10, v2
	v_readfirstlane_b32 s11, v3
	s_add_nc_u64 s[0:1], s[10:11], 1
	s_delay_alu instid0(SALU_CYCLE_1) | instskip(NEXT) | instid1(SALU_CYCLE_1)
	s_add_nc_u64 s[4:5], s[0:1], s[4:5]
	s_cmp_eq_u64 s[4:5], 0
	s_cselect_b32 s1, s1, s5
	s_cselect_b32 s0, s0, s4
	v_mov_b32_e32 v13, s1
	s_and_b64 s[4:5], s[0:1], s[10:11]
	v_mov_b32_e32 v12, s0
	s_mul_u64 s[4:5], s[4:5], 24
	s_wait_loadcnt 0x0
	v_add_nc_u64_e32 v[2:3], s[4:5], v[6:7]
	global_store_b64 v[2:3], v[14:15], off
	global_wb scope:SCOPE_SYS
	s_wait_storecnt 0x0
	s_wait_xcnt 0x0
	global_atomic_cmpswap_b64 v[8:9], v10, v[12:15], s[2:3] offset:24 th:TH_ATOMIC_RETURN scope:SCOPE_SYS
	s_wait_loadcnt 0x0
	v_cmp_ne_u64_e32 vcc_lo, v[8:9], v[14:15]
	s_and_b32 exec_lo, exec_lo, vcc_lo
	s_cbranch_execz .LBB12_275
; %bb.273:
	s_mov_b32 s4, 0
.LBB12_274:                             ; =>This Inner Loop Header: Depth=1
	v_dual_mov_b32 v6, s0 :: v_dual_mov_b32 v7, s1
	s_sleep 1
	global_store_b64 v[2:3], v[8:9], off
	global_wb scope:SCOPE_SYS
	s_wait_storecnt 0x0
	s_wait_xcnt 0x0
	global_atomic_cmpswap_b64 v[6:7], v10, v[6:9], s[2:3] offset:24 th:TH_ATOMIC_RETURN scope:SCOPE_SYS
	s_wait_loadcnt 0x0
	v_cmp_eq_u64_e32 vcc_lo, v[6:7], v[8:9]
	v_mov_b64_e32 v[8:9], v[6:7]
	s_or_b32 s4, vcc_lo, s4
	s_delay_alu instid0(SALU_CYCLE_1)
	s_and_not1_b32 exec_lo, exec_lo, s4
	s_cbranch_execnz .LBB12_274
.LBB12_275:
	s_or_b32 exec_lo, exec_lo, s6
	v_mov_b64_e32 v[2:3], v[4:5]
	s_mov_b32 s0, 0
.LBB12_276:                             ; =>This Inner Loop Header: Depth=1
	global_load_u8 v6, v[2:3], off
	s_wait_xcnt 0x0
	v_add_nc_u64_e32 v[2:3], 1, v[2:3]
	s_wait_loadcnt 0x0
	v_cmp_eq_u16_e32 vcc_lo, 0, v6
	s_or_b32 s0, vcc_lo, s0
	s_delay_alu instid0(SALU_CYCLE_1)
	s_and_not1_b32 exec_lo, exec_lo, s0
	s_cbranch_execnz .LBB12_276
; %bb.277:
	s_or_b32 exec_lo, exec_lo, s0
	s_delay_alu instid0(SALU_CYCLE_1)
	s_mov_b32 s0, exec_lo
	v_cmpx_ne_u64_e32 0, v[4:5]
	s_xor_b32 s6, exec_lo, s0
	s_cbranch_execz .LBB12_363
; %bb.278:
	v_dual_mov_b32 v31, 0 :: v_dual_sub_nc_u32 v26, v2, v4
	v_mov_b64_e32 v[8:9], 0x100000002
	v_and_b32_e32 v28, 2, v0
	s_delay_alu instid0(VALU_DEP_3)
	v_dual_ashrrev_i32 v27, 31, v26 :: v_dual_bitop2_b32 v0, -3, v0 bitop3:0x40
	s_mov_b32 s10, 0
	s_mov_b32 s7, 0
	s_branch .LBB12_280
.LBB12_279:                             ;   in Loop: Header=BB12_280 Depth=1
	s_or_b32 exec_lo, exec_lo, s11
	v_sub_nc_u64_e32 v[26:27], v[26:27], v[32:33]
	v_add_nc_u64_e32 v[4:5], v[4:5], v[32:33]
	s_delay_alu instid0(VALU_DEP_2) | instskip(SKIP_1) | instid1(SALU_CYCLE_1)
	v_cmp_eq_u64_e32 vcc_lo, 0, v[26:27]
	s_or_b32 s7, vcc_lo, s7
	s_and_not1_b32 exec_lo, exec_lo, s7
	s_cbranch_execz .LBB12_362
.LBB12_280:                             ; =>This Loop Header: Depth=1
                                        ;     Child Loop BB12_283 Depth 2
                                        ;     Child Loop BB12_291 Depth 2
	;; [unrolled: 1-line block ×11, first 2 shown]
	s_delay_alu instid0(VALU_DEP_1) | instskip(NEXT) | instid1(VALU_DEP_3)
	v_min_u64 v[32:33], v[26:27], 56
	v_add_nc_u64_e32 v[12:13], 8, v[4:5]
	s_mov_b32 s0, exec_lo
	v_cmpx_gt_u64_e32 8, v[26:27]
	s_xor_b32 s4, exec_lo, s0
	s_cbranch_execz .LBB12_286
; %bb.281:                              ;   in Loop: Header=BB12_280 Depth=1
	v_mov_b64_e32 v[2:3], 0
	s_mov_b32 s5, exec_lo
	v_cmpx_ne_u64_e32 0, v[26:27]
	s_cbranch_execz .LBB12_285
; %bb.282:                              ;   in Loop: Header=BB12_280 Depth=1
	v_mov_b64_e32 v[2:3], 0
	v_mov_b64_e32 v[10:11], v[4:5]
	v_lshlrev_b32_e32 v6, 3, v32
	s_mov_b64 s[0:1], 0
	s_mov_b32 s11, 0
.LBB12_283:                             ;   Parent Loop BB12_280 Depth=1
                                        ; =>  This Inner Loop Header: Depth=2
	global_load_u8 v7, v[10:11], off
	v_mov_b32_e32 v13, s10
	s_wait_xcnt 0x0
	v_add_nc_u64_e32 v[10:11], 1, v[10:11]
	s_wait_loadcnt 0x0
	v_and_b32_e32 v12, 0xffff, v7
	s_delay_alu instid0(VALU_DEP_1) | instskip(SKIP_1) | instid1(SALU_CYCLE_1)
	v_lshlrev_b64_e32 v[12:13], s0, v[12:13]
	s_add_nc_u64 s[0:1], s[0:1], 8
	v_cmp_eq_u32_e32 vcc_lo, s0, v6
	s_delay_alu instid0(VALU_DEP_2) | instskip(NEXT) | instid1(VALU_DEP_3)
	v_or_b32_e32 v3, v13, v3
	v_or_b32_e32 v2, v12, v2
	s_or_b32 s11, vcc_lo, s11
	s_delay_alu instid0(SALU_CYCLE_1)
	s_and_not1_b32 exec_lo, exec_lo, s11
	s_cbranch_execnz .LBB12_283
; %bb.284:                              ;   in Loop: Header=BB12_280 Depth=1
	s_or_b32 exec_lo, exec_lo, s11
.LBB12_285:                             ;   in Loop: Header=BB12_280 Depth=1
	s_delay_alu instid0(SALU_CYCLE_1)
	s_or_b32 exec_lo, exec_lo, s5
	v_mov_b64_e32 v[12:13], v[4:5]
.LBB12_286:                             ;   in Loop: Header=BB12_280 Depth=1
	s_or_saveexec_b32 s0, s4
	v_mov_b32_e32 v14, 0
	s_xor_b32 exec_lo, exec_lo, s0
	s_cbranch_execz .LBB12_288
; %bb.287:                              ;   in Loop: Header=BB12_280 Depth=1
	global_load_b64 v[2:3], v[4:5], off
	v_add_nc_u32_e32 v14, -8, v32
.LBB12_288:                             ;   in Loop: Header=BB12_280 Depth=1
	s_wait_xcnt 0x0
	s_or_b32 exec_lo, exec_lo, s0
	v_add_nc_u64_e32 v[6:7], 8, v[12:13]
                                        ; implicit-def: $vgpr10_vgpr11
	s_mov_b32 s0, exec_lo
	v_cmpx_gt_u32_e32 8, v14
	s_xor_b32 s11, exec_lo, s0
	s_cbranch_execz .LBB12_294
; %bb.289:                              ;   in Loop: Header=BB12_280 Depth=1
	v_mov_b64_e32 v[10:11], 0
	s_mov_b32 s12, exec_lo
	v_cmpx_ne_u32_e32 0, v14
	s_cbranch_execz .LBB12_293
; %bb.290:                              ;   in Loop: Header=BB12_280 Depth=1
	v_mov_b64_e32 v[10:11], 0
	s_mov_b64 s[0:1], 0
	s_mov_b32 s13, 0
	s_mov_b64 s[4:5], 0
.LBB12_291:                             ;   Parent Loop BB12_280 Depth=1
                                        ; =>  This Inner Loop Header: Depth=2
	s_delay_alu instid0(SALU_CYCLE_1) | instskip(SKIP_1) | instid1(SALU_CYCLE_1)
	v_add_nc_u64_e32 v[6:7], s[4:5], v[12:13]
	s_add_nc_u64 s[4:5], s[4:5], 1
	v_cmp_eq_u32_e32 vcc_lo, s4, v14
	global_load_u8 v6, v[6:7], off
	s_wait_xcnt 0x0
	v_mov_b32_e32 v7, s10
	s_or_b32 s13, vcc_lo, s13
	s_wait_loadcnt 0x0
	v_and_b32_e32 v6, 0xffff, v6
	s_delay_alu instid0(VALU_DEP_1) | instskip(SKIP_1) | instid1(VALU_DEP_1)
	v_lshlrev_b64_e32 v[6:7], s0, v[6:7]
	s_add_nc_u64 s[0:1], s[0:1], 8
	v_or_b32_e32 v11, v7, v11
	s_delay_alu instid0(VALU_DEP_2)
	v_or_b32_e32 v10, v6, v10
	s_and_not1_b32 exec_lo, exec_lo, s13
	s_cbranch_execnz .LBB12_291
; %bb.292:                              ;   in Loop: Header=BB12_280 Depth=1
	s_or_b32 exec_lo, exec_lo, s13
.LBB12_293:                             ;   in Loop: Header=BB12_280 Depth=1
	s_delay_alu instid0(SALU_CYCLE_1)
	s_or_b32 exec_lo, exec_lo, s12
	v_mov_b64_e32 v[6:7], v[12:13]
                                        ; implicit-def: $vgpr14
.LBB12_294:                             ;   in Loop: Header=BB12_280 Depth=1
	s_or_saveexec_b32 s0, s11
	v_mov_b32_e32 v15, 0
	s_xor_b32 exec_lo, exec_lo, s0
	s_cbranch_execz .LBB12_296
; %bb.295:                              ;   in Loop: Header=BB12_280 Depth=1
	global_load_b64 v[10:11], v[12:13], off
	v_add_nc_u32_e32 v15, -8, v14
.LBB12_296:                             ;   in Loop: Header=BB12_280 Depth=1
	s_wait_xcnt 0x0
	s_or_b32 exec_lo, exec_lo, s0
	v_add_nc_u64_e32 v[16:17], 8, v[6:7]
	s_mov_b32 s0, exec_lo
	v_cmpx_gt_u32_e32 8, v15
	s_xor_b32 s11, exec_lo, s0
	s_cbranch_execz .LBB12_302
; %bb.297:                              ;   in Loop: Header=BB12_280 Depth=1
	v_mov_b64_e32 v[12:13], 0
	s_mov_b32 s12, exec_lo
	v_cmpx_ne_u32_e32 0, v15
	s_cbranch_execz .LBB12_301
; %bb.298:                              ;   in Loop: Header=BB12_280 Depth=1
	v_mov_b64_e32 v[12:13], 0
	s_mov_b64 s[0:1], 0
	s_mov_b32 s13, 0
	s_mov_b64 s[4:5], 0
.LBB12_299:                             ;   Parent Loop BB12_280 Depth=1
                                        ; =>  This Inner Loop Header: Depth=2
	s_delay_alu instid0(SALU_CYCLE_1) | instskip(SKIP_1) | instid1(SALU_CYCLE_1)
	v_add_nc_u64_e32 v[16:17], s[4:5], v[6:7]
	s_add_nc_u64 s[4:5], s[4:5], 1
	v_cmp_eq_u32_e32 vcc_lo, s4, v15
	global_load_u8 v14, v[16:17], off
	s_wait_xcnt 0x0
	v_mov_b32_e32 v17, s10
	s_or_b32 s13, vcc_lo, s13
	s_wait_loadcnt 0x0
	v_and_b32_e32 v16, 0xffff, v14
	s_delay_alu instid0(VALU_DEP_1) | instskip(SKIP_1) | instid1(VALU_DEP_1)
	v_lshlrev_b64_e32 v[16:17], s0, v[16:17]
	s_add_nc_u64 s[0:1], s[0:1], 8
	v_or_b32_e32 v13, v17, v13
	s_delay_alu instid0(VALU_DEP_2)
	v_or_b32_e32 v12, v16, v12
	s_and_not1_b32 exec_lo, exec_lo, s13
	s_cbranch_execnz .LBB12_299
; %bb.300:                              ;   in Loop: Header=BB12_280 Depth=1
	s_or_b32 exec_lo, exec_lo, s13
.LBB12_301:                             ;   in Loop: Header=BB12_280 Depth=1
	s_delay_alu instid0(SALU_CYCLE_1)
	s_or_b32 exec_lo, exec_lo, s12
	v_mov_b64_e32 v[16:17], v[6:7]
                                        ; implicit-def: $vgpr15
.LBB12_302:                             ;   in Loop: Header=BB12_280 Depth=1
	s_or_saveexec_b32 s0, s11
	v_mov_b32_e32 v18, 0
	s_xor_b32 exec_lo, exec_lo, s0
	s_cbranch_execz .LBB12_304
; %bb.303:                              ;   in Loop: Header=BB12_280 Depth=1
	global_load_b64 v[12:13], v[6:7], off
	v_add_nc_u32_e32 v18, -8, v15
.LBB12_304:                             ;   in Loop: Header=BB12_280 Depth=1
	s_wait_xcnt 0x0
	s_or_b32 exec_lo, exec_lo, s0
	v_add_nc_u64_e32 v[6:7], 8, v[16:17]
                                        ; implicit-def: $vgpr14_vgpr15
	s_mov_b32 s0, exec_lo
	v_cmpx_gt_u32_e32 8, v18
	s_xor_b32 s11, exec_lo, s0
	s_cbranch_execz .LBB12_310
; %bb.305:                              ;   in Loop: Header=BB12_280 Depth=1
	v_mov_b64_e32 v[14:15], 0
	s_mov_b32 s12, exec_lo
	v_cmpx_ne_u32_e32 0, v18
	s_cbranch_execz .LBB12_309
; %bb.306:                              ;   in Loop: Header=BB12_280 Depth=1
	v_mov_b64_e32 v[14:15], 0
	s_mov_b64 s[0:1], 0
	s_mov_b32 s13, 0
	s_mov_b64 s[4:5], 0
.LBB12_307:                             ;   Parent Loop BB12_280 Depth=1
                                        ; =>  This Inner Loop Header: Depth=2
	s_delay_alu instid0(SALU_CYCLE_1) | instskip(SKIP_1) | instid1(SALU_CYCLE_1)
	v_add_nc_u64_e32 v[6:7], s[4:5], v[16:17]
	s_add_nc_u64 s[4:5], s[4:5], 1
	v_cmp_eq_u32_e32 vcc_lo, s4, v18
	global_load_u8 v6, v[6:7], off
	s_wait_xcnt 0x0
	v_mov_b32_e32 v7, s10
	s_or_b32 s13, vcc_lo, s13
	s_wait_loadcnt 0x0
	v_and_b32_e32 v6, 0xffff, v6
	s_delay_alu instid0(VALU_DEP_1) | instskip(SKIP_1) | instid1(VALU_DEP_1)
	v_lshlrev_b64_e32 v[6:7], s0, v[6:7]
	s_add_nc_u64 s[0:1], s[0:1], 8
	v_or_b32_e32 v15, v7, v15
	s_delay_alu instid0(VALU_DEP_2)
	v_or_b32_e32 v14, v6, v14
	s_and_not1_b32 exec_lo, exec_lo, s13
	s_cbranch_execnz .LBB12_307
; %bb.308:                              ;   in Loop: Header=BB12_280 Depth=1
	s_or_b32 exec_lo, exec_lo, s13
.LBB12_309:                             ;   in Loop: Header=BB12_280 Depth=1
	s_delay_alu instid0(SALU_CYCLE_1)
	s_or_b32 exec_lo, exec_lo, s12
	v_mov_b64_e32 v[6:7], v[16:17]
                                        ; implicit-def: $vgpr18
.LBB12_310:                             ;   in Loop: Header=BB12_280 Depth=1
	s_or_saveexec_b32 s0, s11
	v_mov_b32_e32 v19, 0
	s_xor_b32 exec_lo, exec_lo, s0
	s_cbranch_execz .LBB12_312
; %bb.311:                              ;   in Loop: Header=BB12_280 Depth=1
	global_load_b64 v[14:15], v[16:17], off
	v_add_nc_u32_e32 v19, -8, v18
.LBB12_312:                             ;   in Loop: Header=BB12_280 Depth=1
	s_wait_xcnt 0x0
	s_or_b32 exec_lo, exec_lo, s0
	v_add_nc_u64_e32 v[20:21], 8, v[6:7]
	s_mov_b32 s0, exec_lo
	v_cmpx_gt_u32_e32 8, v19
	s_xor_b32 s11, exec_lo, s0
	s_cbranch_execz .LBB12_318
; %bb.313:                              ;   in Loop: Header=BB12_280 Depth=1
	v_mov_b64_e32 v[16:17], 0
	s_mov_b32 s12, exec_lo
	v_cmpx_ne_u32_e32 0, v19
	s_cbranch_execz .LBB12_317
; %bb.314:                              ;   in Loop: Header=BB12_280 Depth=1
	v_mov_b64_e32 v[16:17], 0
	s_mov_b64 s[0:1], 0
	s_mov_b32 s13, 0
	s_mov_b64 s[4:5], 0
.LBB12_315:                             ;   Parent Loop BB12_280 Depth=1
                                        ; =>  This Inner Loop Header: Depth=2
	s_delay_alu instid0(SALU_CYCLE_1) | instskip(SKIP_1) | instid1(SALU_CYCLE_1)
	v_add_nc_u64_e32 v[20:21], s[4:5], v[6:7]
	s_add_nc_u64 s[4:5], s[4:5], 1
	v_cmp_eq_u32_e32 vcc_lo, s4, v19
	global_load_u8 v18, v[20:21], off
	s_wait_xcnt 0x0
	v_mov_b32_e32 v21, s10
	s_or_b32 s13, vcc_lo, s13
	s_wait_loadcnt 0x0
	v_and_b32_e32 v20, 0xffff, v18
	s_delay_alu instid0(VALU_DEP_1) | instskip(SKIP_1) | instid1(VALU_DEP_1)
	v_lshlrev_b64_e32 v[20:21], s0, v[20:21]
	s_add_nc_u64 s[0:1], s[0:1], 8
	v_or_b32_e32 v17, v21, v17
	s_delay_alu instid0(VALU_DEP_2)
	v_or_b32_e32 v16, v20, v16
	s_and_not1_b32 exec_lo, exec_lo, s13
	s_cbranch_execnz .LBB12_315
; %bb.316:                              ;   in Loop: Header=BB12_280 Depth=1
	s_or_b32 exec_lo, exec_lo, s13
.LBB12_317:                             ;   in Loop: Header=BB12_280 Depth=1
	s_delay_alu instid0(SALU_CYCLE_1)
	s_or_b32 exec_lo, exec_lo, s12
	v_mov_b64_e32 v[20:21], v[6:7]
                                        ; implicit-def: $vgpr19
.LBB12_318:                             ;   in Loop: Header=BB12_280 Depth=1
	s_or_saveexec_b32 s0, s11
	v_mov_b32_e32 v22, 0
	s_xor_b32 exec_lo, exec_lo, s0
	s_cbranch_execz .LBB12_320
; %bb.319:                              ;   in Loop: Header=BB12_280 Depth=1
	global_load_b64 v[16:17], v[6:7], off
	v_add_nc_u32_e32 v22, -8, v19
.LBB12_320:                             ;   in Loop: Header=BB12_280 Depth=1
	s_wait_xcnt 0x0
	s_or_b32 exec_lo, exec_lo, s0
	v_add_nc_u64_e32 v[6:7], 8, v[20:21]
                                        ; implicit-def: $vgpr18_vgpr19
	s_mov_b32 s0, exec_lo
	v_cmpx_gt_u32_e32 8, v22
	s_xor_b32 s11, exec_lo, s0
	s_cbranch_execz .LBB12_326
; %bb.321:                              ;   in Loop: Header=BB12_280 Depth=1
	v_mov_b64_e32 v[18:19], 0
	s_mov_b32 s12, exec_lo
	v_cmpx_ne_u32_e32 0, v22
	s_cbranch_execz .LBB12_325
; %bb.322:                              ;   in Loop: Header=BB12_280 Depth=1
	v_mov_b64_e32 v[18:19], 0
	s_mov_b64 s[0:1], 0
	s_mov_b32 s13, 0
	s_mov_b64 s[4:5], 0
.LBB12_323:                             ;   Parent Loop BB12_280 Depth=1
                                        ; =>  This Inner Loop Header: Depth=2
	s_delay_alu instid0(SALU_CYCLE_1) | instskip(SKIP_1) | instid1(SALU_CYCLE_1)
	v_add_nc_u64_e32 v[6:7], s[4:5], v[20:21]
	s_add_nc_u64 s[4:5], s[4:5], 1
	v_cmp_eq_u32_e32 vcc_lo, s4, v22
	global_load_u8 v6, v[6:7], off
	s_wait_xcnt 0x0
	v_mov_b32_e32 v7, s10
	s_or_b32 s13, vcc_lo, s13
	s_wait_loadcnt 0x0
	v_and_b32_e32 v6, 0xffff, v6
	s_delay_alu instid0(VALU_DEP_1) | instskip(SKIP_1) | instid1(VALU_DEP_1)
	v_lshlrev_b64_e32 v[6:7], s0, v[6:7]
	s_add_nc_u64 s[0:1], s[0:1], 8
	v_or_b32_e32 v19, v7, v19
	s_delay_alu instid0(VALU_DEP_2)
	v_or_b32_e32 v18, v6, v18
	s_and_not1_b32 exec_lo, exec_lo, s13
	s_cbranch_execnz .LBB12_323
; %bb.324:                              ;   in Loop: Header=BB12_280 Depth=1
	s_or_b32 exec_lo, exec_lo, s13
.LBB12_325:                             ;   in Loop: Header=BB12_280 Depth=1
	s_delay_alu instid0(SALU_CYCLE_1)
	s_or_b32 exec_lo, exec_lo, s12
	v_mov_b64_e32 v[6:7], v[20:21]
                                        ; implicit-def: $vgpr22
.LBB12_326:                             ;   in Loop: Header=BB12_280 Depth=1
	s_or_saveexec_b32 s0, s11
	v_mov_b32_e32 v23, 0
	s_xor_b32 exec_lo, exec_lo, s0
	s_cbranch_execz .LBB12_328
; %bb.327:                              ;   in Loop: Header=BB12_280 Depth=1
	global_load_b64 v[18:19], v[20:21], off
	v_add_nc_u32_e32 v23, -8, v22
.LBB12_328:                             ;   in Loop: Header=BB12_280 Depth=1
	s_wait_xcnt 0x0
	s_or_b32 exec_lo, exec_lo, s0
	s_delay_alu instid0(SALU_CYCLE_1) | instskip(NEXT) | instid1(VALU_DEP_1)
	s_mov_b32 s0, exec_lo
	v_cmpx_gt_u32_e32 8, v23
	s_xor_b32 s4, exec_lo, s0
	s_cbranch_execz .LBB12_334
; %bb.329:                              ;   in Loop: Header=BB12_280 Depth=1
	v_mov_b64_e32 v[20:21], 0
	s_mov_b32 s5, exec_lo
	v_cmpx_ne_u32_e32 0, v23
	s_cbranch_execz .LBB12_333
; %bb.330:                              ;   in Loop: Header=BB12_280 Depth=1
	v_mov_b64_e32 v[20:21], 0
	s_mov_b64 s[0:1], 0
	s_mov_b32 s11, 0
.LBB12_331:                             ;   Parent Loop BB12_280 Depth=1
                                        ; =>  This Inner Loop Header: Depth=2
	global_load_u8 v22, v[6:7], off
	v_dual_mov_b32 v25, s10 :: v_dual_add_nc_u32 v23, -1, v23
	s_wait_xcnt 0x0
	v_add_nc_u64_e32 v[6:7], 1, v[6:7]
	s_delay_alu instid0(VALU_DEP_2) | instskip(SKIP_3) | instid1(VALU_DEP_1)
	v_cmp_eq_u32_e32 vcc_lo, 0, v23
	s_or_b32 s11, vcc_lo, s11
	s_wait_loadcnt 0x0
	v_and_b32_e32 v24, 0xffff, v22
	v_lshlrev_b64_e32 v[24:25], s0, v[24:25]
	s_add_nc_u64 s[0:1], s[0:1], 8
	s_delay_alu instid0(VALU_DEP_1) | instskip(NEXT) | instid1(VALU_DEP_2)
	v_or_b32_e32 v21, v25, v21
	v_or_b32_e32 v20, v24, v20
	s_and_not1_b32 exec_lo, exec_lo, s11
	s_cbranch_execnz .LBB12_331
; %bb.332:                              ;   in Loop: Header=BB12_280 Depth=1
	s_or_b32 exec_lo, exec_lo, s11
.LBB12_333:                             ;   in Loop: Header=BB12_280 Depth=1
	s_delay_alu instid0(SALU_CYCLE_1)
	s_or_b32 exec_lo, exec_lo, s5
                                        ; implicit-def: $vgpr6_vgpr7
.LBB12_334:                             ;   in Loop: Header=BB12_280 Depth=1
	s_and_not1_saveexec_b32 s0, s4
	s_cbranch_execz .LBB12_336
; %bb.335:                              ;   in Loop: Header=BB12_280 Depth=1
	global_load_b64 v[20:21], v[6:7], off
.LBB12_336:                             ;   in Loop: Header=BB12_280 Depth=1
	s_wait_xcnt 0x0
	s_or_b32 exec_lo, exec_lo, s0
	v_readfirstlane_b32 s0, v48
	v_mov_b64_e32 v[6:7], 0
	s_delay_alu instid0(VALU_DEP_2)
	v_cmp_eq_u32_e64 s0, s0, v48
	s_and_saveexec_b32 s1, s0
	s_cbranch_execz .LBB12_342
; %bb.337:                              ;   in Loop: Header=BB12_280 Depth=1
	global_load_b64 v[24:25], v31, s[2:3] offset:24 scope:SCOPE_SYS
	s_wait_loadcnt 0x0
	global_inv scope:SCOPE_SYS
	s_clause 0x1
	global_load_b64 v[6:7], v31, s[2:3] offset:40
	global_load_b64 v[22:23], v31, s[2:3]
	s_mov_b32 s4, exec_lo
	s_wait_loadcnt 0x1
	v_and_b32_e32 v6, v6, v24
	v_and_b32_e32 v7, v7, v25
	s_delay_alu instid0(VALU_DEP_1) | instskip(SKIP_1) | instid1(VALU_DEP_1)
	v_mul_u64_e32 v[6:7], 24, v[6:7]
	s_wait_loadcnt 0x0
	v_add_nc_u64_e32 v[6:7], v[22:23], v[6:7]
	global_load_b64 v[22:23], v[6:7], off scope:SCOPE_SYS
	s_wait_xcnt 0x0
	s_wait_loadcnt 0x0
	global_atomic_cmpswap_b64 v[6:7], v31, v[22:25], s[2:3] offset:24 th:TH_ATOMIC_RETURN scope:SCOPE_SYS
	s_wait_loadcnt 0x0
	global_inv scope:SCOPE_SYS
	s_wait_xcnt 0x0
	v_cmpx_ne_u64_e64 v[6:7], v[24:25]
	s_cbranch_execz .LBB12_341
; %bb.338:                              ;   in Loop: Header=BB12_280 Depth=1
	s_mov_b32 s5, 0
.LBB12_339:                             ;   Parent Loop BB12_280 Depth=1
                                        ; =>  This Inner Loop Header: Depth=2
	s_sleep 1
	s_clause 0x1
	global_load_b64 v[22:23], v31, s[2:3] offset:40
	global_load_b64 v[34:35], v31, s[2:3]
	v_mov_b64_e32 v[24:25], v[6:7]
	s_wait_loadcnt 0x1
	s_delay_alu instid0(VALU_DEP_1) | instskip(NEXT) | instid1(VALU_DEP_2)
	v_and_b32_e32 v6, v22, v24
	v_and_b32_e32 v22, v23, v25
	s_wait_loadcnt 0x0
	s_delay_alu instid0(VALU_DEP_2) | instskip(NEXT) | instid1(VALU_DEP_1)
	v_mad_nc_u64_u32 v[6:7], v6, 24, v[34:35]
	v_mad_u32 v7, v22, 24, v7
	global_load_b64 v[22:23], v[6:7], off scope:SCOPE_SYS
	s_wait_xcnt 0x0
	s_wait_loadcnt 0x0
	global_atomic_cmpswap_b64 v[6:7], v31, v[22:25], s[2:3] offset:24 th:TH_ATOMIC_RETURN scope:SCOPE_SYS
	s_wait_loadcnt 0x0
	global_inv scope:SCOPE_SYS
	v_cmp_eq_u64_e32 vcc_lo, v[6:7], v[24:25]
	s_or_b32 s5, vcc_lo, s5
	s_wait_xcnt 0x0
	s_and_not1_b32 exec_lo, exec_lo, s5
	s_cbranch_execnz .LBB12_339
; %bb.340:                              ;   in Loop: Header=BB12_280 Depth=1
	s_or_b32 exec_lo, exec_lo, s5
.LBB12_341:                             ;   in Loop: Header=BB12_280 Depth=1
	s_delay_alu instid0(SALU_CYCLE_1)
	s_or_b32 exec_lo, exec_lo, s4
.LBB12_342:                             ;   in Loop: Header=BB12_280 Depth=1
	s_delay_alu instid0(SALU_CYCLE_1)
	s_or_b32 exec_lo, exec_lo, s1
	s_clause 0x1
	global_load_b64 v[34:35], v31, s[2:3] offset:40
	global_load_b128 v[22:25], v31, s[2:3]
	v_readfirstlane_b32 s4, v6
	v_readfirstlane_b32 s5, v7
	s_mov_b32 s1, exec_lo
	s_wait_loadcnt 0x1
	v_and_b32_e32 v36, s4, v34
	v_and_b32_e32 v37, s5, v35
	s_delay_alu instid0(VALU_DEP_1) | instskip(SKIP_1) | instid1(VALU_DEP_1)
	v_mul_u64_e32 v[6:7], 24, v[36:37]
	s_wait_loadcnt 0x0
	v_add_nc_u64_e32 v[34:35], v[22:23], v[6:7]
	s_wait_xcnt 0x0
	s_and_saveexec_b32 s11, s0
	s_cbranch_execz .LBB12_344
; %bb.343:                              ;   in Loop: Header=BB12_280 Depth=1
	v_dual_mov_b32 v6, s1 :: v_dual_mov_b32 v7, v31
	global_store_b128 v[34:35], v[6:9], off offset:8
.LBB12_344:                             ;   in Loop: Header=BB12_280 Depth=1
	s_wait_xcnt 0x0
	s_or_b32 exec_lo, exec_lo, s11
	v_cmp_gt_u64_e32 vcc_lo, 57, v[26:27]
	v_lshlrev_b64_e32 v[6:7], 12, v[36:37]
	v_and_b32_e32 v0, 0xffffff1f, v0
	v_lshl_add_u32 v36, v32, 2, 28
	v_cndmask_b32_e32 v29, 0, v28, vcc_lo
	s_delay_alu instid0(VALU_DEP_4) | instskip(NEXT) | instid1(VALU_DEP_2)
	v_add_nc_u64_e32 v[6:7], v[24:25], v[6:7]
	v_or_b32_e32 v0, v0, v29
	s_delay_alu instid0(VALU_DEP_2) | instskip(NEXT) | instid1(VALU_DEP_3)
	v_readfirstlane_b32 s12, v6
	v_readfirstlane_b32 s13, v7
	s_delay_alu instid0(VALU_DEP_3)
	v_and_or_b32 v0, 0x1e0, v36, v0
	s_clause 0x3
	global_store_b128 v30, v[0:3], s[12:13]
	global_store_b128 v30, v[10:13], s[12:13] offset:16
	global_store_b128 v30, v[14:17], s[12:13] offset:32
	;; [unrolled: 1-line block ×3, first 2 shown]
	s_wait_xcnt 0x0
	s_and_saveexec_b32 s1, s0
	s_cbranch_execz .LBB12_352
; %bb.345:                              ;   in Loop: Header=BB12_280 Depth=1
	s_clause 0x1
	global_load_b64 v[14:15], v31, s[2:3] offset:32 scope:SCOPE_SYS
	global_load_b64 v[0:1], v31, s[2:3] offset:40
	s_mov_b32 s11, exec_lo
	v_dual_mov_b32 v12, s4 :: v_dual_mov_b32 v13, s5
	s_wait_loadcnt 0x0
	v_and_b32_e32 v1, s5, v1
	v_and_b32_e32 v0, s4, v0
	s_delay_alu instid0(VALU_DEP_1) | instskip(NEXT) | instid1(VALU_DEP_1)
	v_mul_u64_e32 v[0:1], 24, v[0:1]
	v_add_nc_u64_e32 v[10:11], v[22:23], v[0:1]
	global_store_b64 v[10:11], v[14:15], off
	global_wb scope:SCOPE_SYS
	s_wait_storecnt 0x0
	s_wait_xcnt 0x0
	global_atomic_cmpswap_b64 v[2:3], v31, v[12:15], s[2:3] offset:32 th:TH_ATOMIC_RETURN scope:SCOPE_SYS
	s_wait_loadcnt 0x0
	v_cmpx_ne_u64_e64 v[2:3], v[14:15]
	s_cbranch_execz .LBB12_348
; %bb.346:                              ;   in Loop: Header=BB12_280 Depth=1
	s_mov_b32 s12, 0
.LBB12_347:                             ;   Parent Loop BB12_280 Depth=1
                                        ; =>  This Inner Loop Header: Depth=2
	v_dual_mov_b32 v0, s4 :: v_dual_mov_b32 v1, s5
	s_sleep 1
	global_store_b64 v[10:11], v[2:3], off
	global_wb scope:SCOPE_SYS
	s_wait_storecnt 0x0
	s_wait_xcnt 0x0
	global_atomic_cmpswap_b64 v[0:1], v31, v[0:3], s[2:3] offset:32 th:TH_ATOMIC_RETURN scope:SCOPE_SYS
	s_wait_loadcnt 0x0
	v_cmp_eq_u64_e32 vcc_lo, v[0:1], v[2:3]
	v_mov_b64_e32 v[2:3], v[0:1]
	s_or_b32 s12, vcc_lo, s12
	s_delay_alu instid0(SALU_CYCLE_1)
	s_and_not1_b32 exec_lo, exec_lo, s12
	s_cbranch_execnz .LBB12_347
.LBB12_348:                             ;   in Loop: Header=BB12_280 Depth=1
	s_or_b32 exec_lo, exec_lo, s11
	global_load_b64 v[0:1], v31, s[2:3] offset:16
	s_mov_b32 s12, exec_lo
	s_mov_b32 s11, exec_lo
	v_mbcnt_lo_u32_b32 v2, s12, 0
	s_wait_xcnt 0x0
	s_delay_alu instid0(VALU_DEP_1)
	v_cmpx_eq_u32_e32 0, v2
	s_cbranch_execz .LBB12_350
; %bb.349:                              ;   in Loop: Header=BB12_280 Depth=1
	s_bcnt1_i32_b32 s12, s12
	s_delay_alu instid0(SALU_CYCLE_1)
	v_dual_mov_b32 v3, v31 :: v_dual_mov_b32 v2, s12
	global_wb scope:SCOPE_SYS
	s_wait_loadcnt 0x0
	s_wait_storecnt 0x0
	global_atomic_add_u64 v[0:1], v[2:3], off offset:8 scope:SCOPE_SYS
.LBB12_350:                             ;   in Loop: Header=BB12_280 Depth=1
	s_wait_xcnt 0x0
	s_or_b32 exec_lo, exec_lo, s11
	s_wait_loadcnt 0x0
	global_load_b64 v[2:3], v[0:1], off offset:16
	s_wait_loadcnt 0x0
	v_cmp_eq_u64_e32 vcc_lo, 0, v[2:3]
	s_cbranch_vccnz .LBB12_352
; %bb.351:                              ;   in Loop: Header=BB12_280 Depth=1
	global_load_b32 v0, v[0:1], off offset:24
	s_wait_xcnt 0x0
	v_mov_b32_e32 v1, v31
	s_wait_loadcnt 0x0
	v_readfirstlane_b32 s11, v0
	global_wb scope:SCOPE_SYS
	s_wait_storecnt 0x0
	global_store_b64 v[2:3], v[0:1], off scope:SCOPE_SYS
	s_and_b32 m0, s11, 0xffffff
	s_sendmsg sendmsg(MSG_INTERRUPT)
.LBB12_352:                             ;   in Loop: Header=BB12_280 Depth=1
	s_wait_xcnt 0x0
	s_or_b32 exec_lo, exec_lo, s1
	v_add_nc_u64_e32 v[0:1], v[6:7], v[30:31]
	s_branch .LBB12_356
.LBB12_353:                             ;   in Loop: Header=BB12_356 Depth=2
	s_wait_xcnt 0x0
	s_or_b32 exec_lo, exec_lo, s1
	s_delay_alu instid0(VALU_DEP_1)
	v_readfirstlane_b32 s1, v2
	s_cmp_eq_u32 s1, 0
	s_cbranch_scc1 .LBB12_355
; %bb.354:                              ;   in Loop: Header=BB12_356 Depth=2
	s_sleep 1
	s_cbranch_execnz .LBB12_356
	s_branch .LBB12_358
.LBB12_355:                             ;   in Loop: Header=BB12_280 Depth=1
	s_branch .LBB12_358
.LBB12_356:                             ;   Parent Loop BB12_280 Depth=1
                                        ; =>  This Inner Loop Header: Depth=2
	v_mov_b32_e32 v2, 1
	s_and_saveexec_b32 s1, s0
	s_cbranch_execz .LBB12_353
; %bb.357:                              ;   in Loop: Header=BB12_356 Depth=2
	global_load_b32 v2, v[34:35], off offset:20 scope:SCOPE_SYS
	s_wait_loadcnt 0x0
	global_inv scope:SCOPE_SYS
	v_and_b32_e32 v2, 1, v2
	s_branch .LBB12_353
.LBB12_358:                             ;   in Loop: Header=BB12_280 Depth=1
	global_load_b64 v[0:1], v[0:1], off
	s_wait_xcnt 0x0
	s_and_saveexec_b32 s11, s0
	s_cbranch_execz .LBB12_279
; %bb.359:                              ;   in Loop: Header=BB12_280 Depth=1
	s_clause 0x2
	global_load_b64 v[2:3], v31, s[2:3] offset:40
	global_load_b64 v[14:15], v31, s[2:3] offset:24 scope:SCOPE_SYS
	global_load_b64 v[6:7], v31, s[2:3]
	s_wait_loadcnt 0x2
	v_readfirstlane_b32 s12, v2
	v_readfirstlane_b32 s13, v3
	s_add_nc_u64 s[0:1], s[12:13], 1
	s_delay_alu instid0(SALU_CYCLE_1) | instskip(NEXT) | instid1(SALU_CYCLE_1)
	s_add_nc_u64 s[4:5], s[0:1], s[4:5]
	s_cmp_eq_u64 s[4:5], 0
	s_cselect_b32 s1, s1, s5
	s_cselect_b32 s0, s0, s4
	s_delay_alu instid0(SALU_CYCLE_1) | instskip(SKIP_1) | instid1(SALU_CYCLE_1)
	v_dual_mov_b32 v13, s1 :: v_dual_mov_b32 v12, s0
	s_and_b64 s[4:5], s[0:1], s[12:13]
	s_mul_u64 s[4:5], s[4:5], 24
	s_wait_loadcnt 0x0
	v_add_nc_u64_e32 v[2:3], s[4:5], v[6:7]
	global_store_b64 v[2:3], v[14:15], off
	global_wb scope:SCOPE_SYS
	s_wait_storecnt 0x0
	s_wait_xcnt 0x0
	global_atomic_cmpswap_b64 v[12:13], v31, v[12:15], s[2:3] offset:24 th:TH_ATOMIC_RETURN scope:SCOPE_SYS
	s_wait_loadcnt 0x0
	v_cmp_ne_u64_e32 vcc_lo, v[12:13], v[14:15]
	s_and_b32 exec_lo, exec_lo, vcc_lo
	s_cbranch_execz .LBB12_279
; %bb.360:                              ;   in Loop: Header=BB12_280 Depth=1
	s_mov_b32 s4, 0
.LBB12_361:                             ;   Parent Loop BB12_280 Depth=1
                                        ; =>  This Inner Loop Header: Depth=2
	v_dual_mov_b32 v10, s0 :: v_dual_mov_b32 v11, s1
	s_sleep 1
	global_store_b64 v[2:3], v[12:13], off
	global_wb scope:SCOPE_SYS
	s_wait_storecnt 0x0
	s_wait_xcnt 0x0
	global_atomic_cmpswap_b64 v[6:7], v31, v[10:13], s[2:3] offset:24 th:TH_ATOMIC_RETURN scope:SCOPE_SYS
	s_wait_loadcnt 0x0
	v_cmp_eq_u64_e32 vcc_lo, v[6:7], v[12:13]
	v_mov_b64_e32 v[12:13], v[6:7]
	s_or_b32 s4, vcc_lo, s4
	s_delay_alu instid0(SALU_CYCLE_1)
	s_and_not1_b32 exec_lo, exec_lo, s4
	s_cbranch_execnz .LBB12_361
	s_branch .LBB12_279
.LBB12_362:
	s_or_b32 exec_lo, exec_lo, s7
                                        ; implicit-def: $vgpr30
                                        ; implicit-def: $vgpr48
.LBB12_363:
	s_and_not1_saveexec_b32 s6, s6
	s_cbranch_execz .LBB12_391
; %bb.364:
	v_readfirstlane_b32 s0, v48
	v_mov_b64_e32 v[2:3], 0
	s_delay_alu instid0(VALU_DEP_2)
	v_cmp_eq_u32_e64 s0, s0, v48
	s_and_saveexec_b32 s1, s0
	s_cbranch_execz .LBB12_370
; %bb.365:
	v_mov_b32_e32 v4, 0
	s_mov_b32 s4, exec_lo
	global_load_b64 v[8:9], v4, s[2:3] offset:24 scope:SCOPE_SYS
	s_wait_loadcnt 0x0
	global_inv scope:SCOPE_SYS
	s_clause 0x1
	global_load_b64 v[2:3], v4, s[2:3] offset:40
	global_load_b64 v[6:7], v4, s[2:3]
	s_wait_loadcnt 0x1
	v_and_b32_e32 v2, v2, v8
	v_and_b32_e32 v3, v3, v9
	s_delay_alu instid0(VALU_DEP_1) | instskip(SKIP_1) | instid1(VALU_DEP_1)
	v_mul_u64_e32 v[2:3], 24, v[2:3]
	s_wait_loadcnt 0x0
	v_add_nc_u64_e32 v[2:3], v[6:7], v[2:3]
	global_load_b64 v[6:7], v[2:3], off scope:SCOPE_SYS
	s_wait_xcnt 0x0
	s_wait_loadcnt 0x0
	global_atomic_cmpswap_b64 v[2:3], v4, v[6:9], s[2:3] offset:24 th:TH_ATOMIC_RETURN scope:SCOPE_SYS
	s_wait_loadcnt 0x0
	global_inv scope:SCOPE_SYS
	s_wait_xcnt 0x0
	v_cmpx_ne_u64_e64 v[2:3], v[8:9]
	s_cbranch_execz .LBB12_369
; %bb.366:
	s_mov_b32 s5, 0
.LBB12_367:                             ; =>This Inner Loop Header: Depth=1
	s_sleep 1
	s_clause 0x1
	global_load_b64 v[6:7], v4, s[2:3] offset:40
	global_load_b64 v[10:11], v4, s[2:3]
	v_mov_b64_e32 v[8:9], v[2:3]
	s_wait_loadcnt 0x1
	s_delay_alu instid0(VALU_DEP_1) | instskip(NEXT) | instid1(VALU_DEP_2)
	v_and_b32_e32 v2, v6, v8
	v_and_b32_e32 v5, v7, v9
	s_wait_loadcnt 0x0
	s_delay_alu instid0(VALU_DEP_2) | instskip(NEXT) | instid1(VALU_DEP_1)
	v_mad_nc_u64_u32 v[2:3], v2, 24, v[10:11]
	v_mad_u32 v3, v5, 24, v3
	global_load_b64 v[6:7], v[2:3], off scope:SCOPE_SYS
	s_wait_xcnt 0x0
	s_wait_loadcnt 0x0
	global_atomic_cmpswap_b64 v[2:3], v4, v[6:9], s[2:3] offset:24 th:TH_ATOMIC_RETURN scope:SCOPE_SYS
	s_wait_loadcnt 0x0
	global_inv scope:SCOPE_SYS
	v_cmp_eq_u64_e32 vcc_lo, v[2:3], v[8:9]
	s_or_b32 s5, vcc_lo, s5
	s_wait_xcnt 0x0
	s_and_not1_b32 exec_lo, exec_lo, s5
	s_cbranch_execnz .LBB12_367
; %bb.368:
	s_or_b32 exec_lo, exec_lo, s5
.LBB12_369:
	s_delay_alu instid0(SALU_CYCLE_1)
	s_or_b32 exec_lo, exec_lo, s4
.LBB12_370:
	s_delay_alu instid0(SALU_CYCLE_1)
	s_or_b32 exec_lo, exec_lo, s1
	v_readfirstlane_b32 s4, v2
	v_mov_b32_e32 v31, 0
	v_readfirstlane_b32 s5, v3
	s_mov_b32 s1, exec_lo
	s_clause 0x1
	global_load_b64 v[8:9], v31, s[2:3] offset:40
	global_load_b128 v[4:7], v31, s[2:3]
	s_wait_loadcnt 0x1
	v_and_b32_e32 v2, s4, v8
	v_and_b32_e32 v3, s5, v9
	s_delay_alu instid0(VALU_DEP_1) | instskip(SKIP_1) | instid1(VALU_DEP_1)
	v_mul_u64_e32 v[8:9], 24, v[2:3]
	s_wait_loadcnt 0x0
	v_add_nc_u64_e32 v[8:9], v[4:5], v[8:9]
	s_wait_xcnt 0x0
	s_and_saveexec_b32 s7, s0
	s_cbranch_execz .LBB12_372
; %bb.371:
	v_mov_b64_e32 v[12:13], 0x100000002
	v_dual_mov_b32 v10, s1 :: v_dual_mov_b32 v11, v31
	global_store_b128 v[8:9], v[10:13], off offset:8
.LBB12_372:
	s_wait_xcnt 0x0
	s_or_b32 exec_lo, exec_lo, s7
	v_lshlrev_b64_e32 v[2:3], 12, v[2:3]
	s_mov_b32 s12, 0
	v_and_or_b32 v0, 0xffffff1f, v0, 32
	s_mov_b32 s13, s12
	s_mov_b32 s14, s12
	;; [unrolled: 1-line block ×3, first 2 shown]
	v_mov_b64_e32 v[10:11], s[12:13]
	v_add_nc_u64_e32 v[6:7], v[6:7], v[2:3]
	v_mov_b64_e32 v[12:13], s[14:15]
	v_dual_mov_b32 v2, v31 :: v_dual_mov_b32 v3, v31
	s_delay_alu instid0(VALU_DEP_3) | instskip(NEXT) | instid1(VALU_DEP_4)
	v_readfirstlane_b32 s10, v6
	v_readfirstlane_b32 s11, v7
	s_clause 0x3
	global_store_b128 v30, v[0:3], s[10:11]
	global_store_b128 v30, v[10:13], s[10:11] offset:16
	global_store_b128 v30, v[10:13], s[10:11] offset:32
	;; [unrolled: 1-line block ×3, first 2 shown]
	s_wait_xcnt 0x0
	s_and_saveexec_b32 s1, s0
	s_cbranch_execz .LBB12_380
; %bb.373:
	v_dual_mov_b32 v10, 0 :: v_dual_mov_b32 v13, s5
	s_mov_b32 s7, exec_lo
	s_clause 0x1
	global_load_b64 v[14:15], v10, s[2:3] offset:32 scope:SCOPE_SYS
	global_load_b64 v[0:1], v10, s[2:3] offset:40
	s_wait_loadcnt 0x0
	v_dual_mov_b32 v12, s4 :: v_dual_bitop2_b32 v1, s5, v1 bitop3:0x40
	v_and_b32_e32 v0, s4, v0
	s_delay_alu instid0(VALU_DEP_1) | instskip(NEXT) | instid1(VALU_DEP_1)
	v_mul_u64_e32 v[0:1], 24, v[0:1]
	v_add_nc_u64_e32 v[4:5], v[4:5], v[0:1]
	global_store_b64 v[4:5], v[14:15], off
	global_wb scope:SCOPE_SYS
	s_wait_storecnt 0x0
	s_wait_xcnt 0x0
	global_atomic_cmpswap_b64 v[2:3], v10, v[12:15], s[2:3] offset:32 th:TH_ATOMIC_RETURN scope:SCOPE_SYS
	s_wait_loadcnt 0x0
	v_cmpx_ne_u64_e64 v[2:3], v[14:15]
	s_cbranch_execz .LBB12_376
; %bb.374:
	s_mov_b32 s10, 0
.LBB12_375:                             ; =>This Inner Loop Header: Depth=1
	v_dual_mov_b32 v0, s4 :: v_dual_mov_b32 v1, s5
	s_sleep 1
	global_store_b64 v[4:5], v[2:3], off
	global_wb scope:SCOPE_SYS
	s_wait_storecnt 0x0
	s_wait_xcnt 0x0
	global_atomic_cmpswap_b64 v[0:1], v10, v[0:3], s[2:3] offset:32 th:TH_ATOMIC_RETURN scope:SCOPE_SYS
	s_wait_loadcnt 0x0
	v_cmp_eq_u64_e32 vcc_lo, v[0:1], v[2:3]
	v_mov_b64_e32 v[2:3], v[0:1]
	s_or_b32 s10, vcc_lo, s10
	s_delay_alu instid0(SALU_CYCLE_1)
	s_and_not1_b32 exec_lo, exec_lo, s10
	s_cbranch_execnz .LBB12_375
.LBB12_376:
	s_or_b32 exec_lo, exec_lo, s7
	v_mov_b32_e32 v3, 0
	s_mov_b32 s10, exec_lo
	s_mov_b32 s7, exec_lo
	v_mbcnt_lo_u32_b32 v2, s10, 0
	global_load_b64 v[0:1], v3, s[2:3] offset:16
	s_wait_xcnt 0x0
	v_cmpx_eq_u32_e32 0, v2
	s_cbranch_execz .LBB12_378
; %bb.377:
	s_bcnt1_i32_b32 s10, s10
	s_delay_alu instid0(SALU_CYCLE_1)
	v_mov_b32_e32 v2, s10
	global_wb scope:SCOPE_SYS
	s_wait_loadcnt 0x0
	s_wait_storecnt 0x0
	global_atomic_add_u64 v[0:1], v[2:3], off offset:8 scope:SCOPE_SYS
.LBB12_378:
	s_wait_xcnt 0x0
	s_or_b32 exec_lo, exec_lo, s7
	s_wait_loadcnt 0x0
	global_load_b64 v[2:3], v[0:1], off offset:16
	s_wait_loadcnt 0x0
	v_cmp_eq_u64_e32 vcc_lo, 0, v[2:3]
	s_cbranch_vccnz .LBB12_380
; %bb.379:
	global_load_b32 v0, v[0:1], off offset:24
	s_wait_xcnt 0x0
	v_mov_b32_e32 v1, 0
	s_wait_loadcnt 0x0
	v_readfirstlane_b32 s7, v0
	global_wb scope:SCOPE_SYS
	s_wait_storecnt 0x0
	global_store_b64 v[2:3], v[0:1], off scope:SCOPE_SYS
	s_and_b32 m0, s7, 0xffffff
	s_sendmsg sendmsg(MSG_INTERRUPT)
.LBB12_380:
	s_wait_xcnt 0x0
	s_or_b32 exec_lo, exec_lo, s1
	v_add_nc_u64_e32 v[0:1], v[6:7], v[30:31]
	s_branch .LBB12_384
.LBB12_381:                             ;   in Loop: Header=BB12_384 Depth=1
	s_wait_xcnt 0x0
	s_or_b32 exec_lo, exec_lo, s1
	s_delay_alu instid0(VALU_DEP_1)
	v_readfirstlane_b32 s1, v2
	s_cmp_eq_u32 s1, 0
	s_cbranch_scc1 .LBB12_383
; %bb.382:                              ;   in Loop: Header=BB12_384 Depth=1
	s_sleep 1
	s_cbranch_execnz .LBB12_384
	s_branch .LBB12_386
.LBB12_383:
	s_branch .LBB12_386
.LBB12_384:                             ; =>This Inner Loop Header: Depth=1
	v_mov_b32_e32 v2, 1
	s_and_saveexec_b32 s1, s0
	s_cbranch_execz .LBB12_381
; %bb.385:                              ;   in Loop: Header=BB12_384 Depth=1
	global_load_b32 v2, v[8:9], off offset:20 scope:SCOPE_SYS
	s_wait_loadcnt 0x0
	global_inv scope:SCOPE_SYS
	v_and_b32_e32 v2, 1, v2
	s_branch .LBB12_381
.LBB12_386:
	global_load_b64 v[0:1], v[0:1], off
	s_wait_xcnt 0x0
	s_and_saveexec_b32 s7, s0
	s_cbranch_execz .LBB12_390
; %bb.387:
	v_mov_b32_e32 v8, 0
	s_clause 0x2
	global_load_b64 v[2:3], v8, s[2:3] offset:40
	global_load_b64 v[12:13], v8, s[2:3] offset:24 scope:SCOPE_SYS
	global_load_b64 v[4:5], v8, s[2:3]
	s_wait_loadcnt 0x2
	v_readfirstlane_b32 s10, v2
	v_readfirstlane_b32 s11, v3
	s_add_nc_u64 s[0:1], s[10:11], 1
	s_delay_alu instid0(SALU_CYCLE_1) | instskip(NEXT) | instid1(SALU_CYCLE_1)
	s_add_nc_u64 s[4:5], s[0:1], s[4:5]
	s_cmp_eq_u64 s[4:5], 0
	s_cselect_b32 s1, s1, s5
	s_cselect_b32 s0, s0, s4
	v_mov_b32_e32 v11, s1
	s_and_b64 s[4:5], s[0:1], s[10:11]
	v_mov_b32_e32 v10, s0
	s_mul_u64 s[4:5], s[4:5], 24
	s_wait_loadcnt 0x0
	v_add_nc_u64_e32 v[6:7], s[4:5], v[4:5]
	global_store_b64 v[6:7], v[12:13], off
	global_wb scope:SCOPE_SYS
	s_wait_storecnt 0x0
	s_wait_xcnt 0x0
	global_atomic_cmpswap_b64 v[4:5], v8, v[10:13], s[2:3] offset:24 th:TH_ATOMIC_RETURN scope:SCOPE_SYS
	s_wait_loadcnt 0x0
	v_cmp_ne_u64_e32 vcc_lo, v[4:5], v[12:13]
	s_and_b32 exec_lo, exec_lo, vcc_lo
	s_cbranch_execz .LBB12_390
; %bb.388:
	s_mov_b32 s4, 0
.LBB12_389:                             ; =>This Inner Loop Header: Depth=1
	v_dual_mov_b32 v2, s0 :: v_dual_mov_b32 v3, s1
	s_sleep 1
	global_store_b64 v[6:7], v[4:5], off
	global_wb scope:SCOPE_SYS
	s_wait_storecnt 0x0
	s_wait_xcnt 0x0
	global_atomic_cmpswap_b64 v[2:3], v8, v[2:5], s[2:3] offset:24 th:TH_ATOMIC_RETURN scope:SCOPE_SYS
	s_wait_loadcnt 0x0
	v_cmp_eq_u64_e32 vcc_lo, v[2:3], v[4:5]
	v_mov_b64_e32 v[4:5], v[2:3]
	s_or_b32 s4, vcc_lo, s4
	s_delay_alu instid0(SALU_CYCLE_1)
	s_and_not1_b32 exec_lo, exec_lo, s4
	s_cbranch_execnz .LBB12_389
.LBB12_390:
	s_or_b32 exec_lo, exec_lo, s7
.LBB12_391:
	s_delay_alu instid0(SALU_CYCLE_1)
	s_or_b32 exec_lo, exec_lo, s6
	s_get_pc_i64 s[0:1]
	s_add_nc_u64 s[0:1], s[0:1], .str.5@rel64+4
	s_get_pc_i64 s[2:3]
	s_add_nc_u64 s[2:3], s[2:3], .str.5@rel64+65
	v_dual_mov_b32 v2, s0 :: v_dual_mov_b32 v3, s1
	s_sub_co_i32 s4, s2, s0
	v_mov_b32_e32 v6, 1
	s_ashr_i32 s5, s4, 31
	s_delay_alu instid0(SALU_CYCLE_1) | instskip(SKIP_2) | instid1(SALU_CYCLE_1)
	v_dual_mov_b32 v4, s4 :: v_dual_mov_b32 v5, s5
	s_get_pc_i64 s[2:3]
	s_add_nc_u64 s[2:3], s[2:3], __ockl_fprintf_append_string_n@rel64+4
	s_swap_pc_i64 s[30:31], s[2:3]
	s_trap 2
.Lfunc_end12:
	.size	__assert_fail, .Lfunc_end12-__assert_fail
                                        ; -- End function
	.set .L__assert_fail.num_vgpr, max(49, .L__ockl_fprintf_append_string_n.num_vgpr)
	.set .L__assert_fail.num_agpr, max(0, .L__ockl_fprintf_append_string_n.num_agpr)
	.set .L__assert_fail.numbered_sgpr, max(34, .L__ockl_fprintf_append_string_n.numbered_sgpr)
	.set .L__assert_fail.num_named_barrier, max(0, .L__ockl_fprintf_append_string_n.num_named_barrier)
	.set .L__assert_fail.private_seg_size, 64+max(.L__ockl_fprintf_append_string_n.private_seg_size)
	.set .L__assert_fail.uses_vcc, or(1, .L__ockl_fprintf_append_string_n.uses_vcc)
	.set .L__assert_fail.uses_flat_scratch, or(1, .L__ockl_fprintf_append_string_n.uses_flat_scratch)
	.set .L__assert_fail.has_dyn_sized_stack, or(0, .L__ockl_fprintf_append_string_n.has_dyn_sized_stack)
	.set .L__assert_fail.has_recursion, or(0, .L__ockl_fprintf_append_string_n.has_recursion)
	.set .L__assert_fail.has_indirect_call, or(0, .L__ockl_fprintf_append_string_n.has_indirect_call)
	.section	.AMDGPU.csdata,"",@progbits
; Function info:
; codeLenInByte = 15740
; TotalNumSgprs: 36
; NumVgprs: 49
; ScratchSize: 64
; MemoryBound: 0
	.section	.text._ZN9rocsolver6v33100L14bdsqr_finalizeIffPfS2_S2_EEviiiiPT0_lS4_lT1_iilT2_iilT3_iilPiS8_S8_,"axG",@progbits,_ZN9rocsolver6v33100L14bdsqr_finalizeIffPfS2_S2_EEviiiiPT0_lS4_lT1_iilT2_iilT3_iilPiS8_S8_,comdat
	.globl	_ZN9rocsolver6v33100L14bdsqr_finalizeIffPfS2_S2_EEviiiiPT0_lS4_lT1_iilT2_iilT3_iilPiS8_S8_ ; -- Begin function _ZN9rocsolver6v33100L14bdsqr_finalizeIffPfS2_S2_EEviiiiPT0_lS4_lT1_iilT2_iilT3_iilPiS8_S8_
	.p2align	8
	.type	_ZN9rocsolver6v33100L14bdsqr_finalizeIffPfS2_S2_EEviiiiPT0_lS4_lT1_iilT2_iilT3_iilPiS8_S8_,@function
_ZN9rocsolver6v33100L14bdsqr_finalizeIffPfS2_S2_EEviiiiPT0_lS4_lT1_iilT2_iilT3_iilPiS8_S8_: ; @_ZN9rocsolver6v33100L14bdsqr_finalizeIffPfS2_S2_EEviiiiPT0_lS4_lT1_iilT2_iilT3_iilPiS8_S8_
; %bb.0:
	s_load_b256 s[36:43], s[0:1], 0x70
	s_bfe_u32 s2, ttmp6, 0x40010
	s_bfe_u32 s3, ttmp6, 0x40004
	s_add_co_i32 s2, s2, 1
	s_getreg_b32 s4, hwreg(HW_REG_IB_STS2, 6, 4)
	s_mul_i32 s2, ttmp7, s2
	s_mov_b32 s32, 0
	s_add_co_i32 s3, s3, s2
	s_cmp_eq_u32 s4, 0
	s_cselect_b32 s8, ttmp7, s3
	s_delay_alu instid0(SALU_CYCLE_1) | instskip(NEXT) | instid1(SALU_CYCLE_1)
	s_ashr_i32 s9, s8, 31
	s_lshl_b64 s[22:23], s[8:9], 2
	s_wait_kmcnt 0x0
	s_add_nc_u64 s[2:3], s[42:43], s[22:23]
	s_load_b32 s2, s[2:3], 0x8
	s_wait_kmcnt 0x0
	s_cmp_gt_i32 s2, 1
	s_cbranch_scc1 .LBB13_311
; %bb.1:
	s_clause 0x2
	s_load_b64 s[2:3], s[0:1], 0x9c
	s_load_b256 s[44:51], s[0:1], 0x30
	s_load_b256 s[52:59], s[0:1], 0x10
	s_mov_b64 s[28:29], 0
	s_mov_b64 s[34:35], 0
	s_wait_kmcnt 0x0
	s_and_b32 s3, s3, 0xffff
	s_cmp_eq_u64 s[44:45], 0
	s_cbranch_scc1 .LBB13_3
; %bb.2:
	s_mul_u64 s[4:5], s[48:49], s[8:9]
	s_ashr_i32 s7, s46, 31
	s_lshl_b64 s[4:5], s[4:5], 2
	s_mov_b32 s6, s46
	s_add_nc_u64 s[4:5], s[44:45], s[4:5]
	s_lshl_b64 s[6:7], s[6:7], 2
	s_delay_alu instid0(SALU_CYCLE_1)
	s_add_nc_u64 s[34:35], s[4:5], s[6:7]
.LBB13_3:
	s_clause 0x1
	s_load_b64 s[42:43], s[0:1], 0x50
	s_load_b128 s[4:7], s[0:1], 0x58
	s_cmp_eq_u64 s[50:51], 0
	s_cbranch_scc1 .LBB13_5
; %bb.4:
	s_wait_kmcnt 0x0
	s_mul_u64 s[4:5], s[4:5], s[8:9]
	s_ashr_i32 s11, s42, 31
	s_lshl_b64 s[4:5], s[4:5], 2
	s_mov_b32 s10, s42
	s_add_nc_u64 s[4:5], s[50:51], s[4:5]
	s_lshl_b64 s[10:11], s[10:11], 2
	s_delay_alu instid0(SALU_CYCLE_1)
	s_add_nc_u64 s[28:29], s[4:5], s[10:11]
.LBB13_5:
	s_load_b64 s[48:49], s[0:1], 0x68
	s_wait_kmcnt 0x0
	s_cmp_eq_u64 s[6:7], 0
	s_mov_b64 s[44:45], 0
	s_cbranch_scc1 .LBB13_7
; %bb.6:
	s_mul_u64 s[4:5], s[36:37], s[8:9]
	s_ashr_i32 s11, s48, 31
	s_lshl_b64 s[4:5], s[4:5], 2
	s_mov_b32 s10, s48
	s_add_nc_u64 s[4:5], s[6:7], s[4:5]
	s_lshl_b64 s[6:7], s[10:11], 2
	s_delay_alu instid0(SALU_CYCLE_1)
	s_add_nc_u64 s[44:45], s[4:5], s[6:7]
.LBB13_7:
	v_and_b32_e32 v42, 0x3ff, v0
	v_bfe_u32 v43, v0, 10, 10
	s_and_b32 s21, s2, 0xffff
	s_load_b128 s[24:27], s[0:1], 0x0
	v_bfe_u32 v44, v0, 20, 10
	s_lshr_b32 s2, s2, 16
	v_mad_u32_u24 v1, v43, s21, v42
	s_mul_i32 s46, s2, s21
	s_mul_u64 s[4:5], s[54:55], s[8:9]
	s_and_b32 s3, s3, 0xffff
	s_lshl_b64 s[50:51], s[4:5], 2
	v_mad_u32 v41, s46, v44, v1
	s_add_nc_u64 s[36:37], s[52:53], s[50:51]
	s_mul_i32 s46, s46, s3
	s_delay_alu instid0(VALU_DEP_1)
	v_cmp_eq_u32_e64 s2, 0, v41
	s_wait_kmcnt 0x0
	s_cmp_lt_i32 s24, 1
	s_cbranch_scc1 .LBB13_22
; %bb.8:
	s_mul_u64 s[4:5], s[58:59], s[8:9]
	s_add_co_i32 s9, s24, -1
	s_lshl_b64 s[4:5], s[4:5], 2
	v_cmp_gt_u32_e64 s3, s25, v41
	v_mov_b32_e32 v1, 0
	s_cmp_lg_u32 s25, 0
	s_mov_b32 s7, 0
	s_add_nc_u64 s[4:5], s[56:57], s[4:5]
	s_cselect_b32 s16, -1, 0
	s_ashr_i32 s11, s47, 31
	s_mov_b32 s10, s47
	s_mov_b32 s6, s7
	s_mov_b32 s42, s7
	s_branch .LBB13_11
.LBB13_9:                               ;   in Loop: Header=BB13_11 Depth=1
	s_wait_xcnt 0x0
	s_or_b32 exec_lo, exec_lo, s14
.LBB13_10:                              ;   in Loop: Header=BB13_11 Depth=1
	s_add_co_i32 s6, s6, 1
	s_delay_alu instid0(SALU_CYCLE_1)
	s_cmp_eq_u32 s6, s24
	s_cbranch_scc1 .LBB13_23
.LBB13_11:                              ; =>This Loop Header: Depth=1
                                        ;     Child Loop BB13_18 Depth 2
	s_cmp_ge_i32 s6, s9
	s_cbranch_scc1 .LBB13_14
; %bb.12:                               ;   in Loop: Header=BB13_11 Depth=1
	s_wait_xcnt 0x0
	s_lshl_b64 s[12:13], s[6:7], 2
	s_delay_alu instid0(SALU_CYCLE_1)
	s_add_nc_u64 s[12:13], s[4:5], s[12:13]
	global_load_b32 v0, v1, s[12:13]
	s_wait_loadcnt 0x0
	v_cmp_eq_f32_e32 vcc_lo, 0, v0
	s_cbranch_vccnz .LBB13_14
; %bb.13:                               ;   in Loop: Header=BB13_11 Depth=1
	s_add_co_i32 s42, s42, 1
.LBB13_14:                              ;   in Loop: Header=BB13_11 Depth=1
	s_lshl_b64 s[14:15], s[6:7], 2
	s_wait_xcnt 0x0
	s_add_nc_u64 s[12:13], s[36:37], s[14:15]
	global_load_b32 v0, v1, s[12:13]
	s_wait_loadcnt 0x0
	v_cmp_ngt_f32_e32 vcc_lo, 0, v0
	s_cbranch_vccnz .LBB13_10
; %bb.15:                               ;   in Loop: Header=BB13_11 Depth=1
	s_and_not1_b32 vcc_lo, exec_lo, s16
	s_cbranch_vccnz .LBB13_20
; %bb.16:                               ;   in Loop: Header=BB13_11 Depth=1
	s_wait_xcnt 0x0
	s_and_saveexec_b32 s17, s3
	s_cbranch_execz .LBB13_19
; %bb.17:                               ;   in Loop: Header=BB13_11 Depth=1
	v_mov_b32_e32 v0, v41
	s_add_nc_u64 s[14:15], s[34:35], s[14:15]
	s_mov_b32 s18, 0
.LBB13_18:                              ;   Parent Loop BB13_11 Depth=1
                                        ; =>  This Inner Loop Header: Depth=2
	s_delay_alu instid0(VALU_DEP_1) | instskip(SKIP_1) | instid1(VALU_DEP_1)
	v_mul_u64_e32 v[2:3], s[10:11], v[0:1]
	v_add_nc_u32_e32 v0, s46, v0
	v_cmp_le_u32_e32 vcc_lo, s25, v0
	s_or_b32 s18, vcc_lo, s18
	s_delay_alu instid0(VALU_DEP_3)
	v_lshl_add_u64 v[2:3], v[2:3], 2, s[14:15]
	global_load_b32 v4, v[2:3], off
	s_wait_loadcnt 0x0
	v_xor_b32_e32 v4, 0x80000000, v4
	global_store_b32 v[2:3], v4, off
	s_wait_xcnt 0x0
	s_and_not1_b32 exec_lo, exec_lo, s18
	s_cbranch_execnz .LBB13_18
.LBB13_19:                              ;   in Loop: Header=BB13_11 Depth=1
	s_or_b32 exec_lo, exec_lo, s17
	s_wait_storecnt 0x0
	s_barrier_signal -1
	s_barrier_wait -1
.LBB13_20:                              ;   in Loop: Header=BB13_11 Depth=1
	s_wait_xcnt 0x0
	s_and_saveexec_b32 s14, s2
	s_cbranch_execz .LBB13_9
; %bb.21:                               ;   in Loop: Header=BB13_11 Depth=1
	global_load_b32 v0, v1, s[12:13]
	s_wait_loadcnt 0x0
	v_xor_b32_e32 v0, 0x80000000, v0
	global_store_b32 v1, v0, s[12:13]
	s_branch .LBB13_9
.LBB13_22:
	s_mov_b32 s42, 0
.LBB13_23:
	s_delay_alu instid0(SALU_CYCLE_1)
	s_cmp_lt_i32 s42, 1
	s_mov_b32 s2, -1
	s_cbranch_scc0 .LBB13_308
; %bb.24:
	s_mul_i32 s2, s8, s24
	s_mov_b32 s54, 0
	s_lshl_b32 s2, s2, 1
	s_wait_storecnt 0x0
	s_ashr_i32 s3, s2, 31
	s_barrier_signal -1
	s_lshl_b64 s[2:3], s[2:3], 2
	s_cmp_lg_u64 s[40:41], 0
	s_add_nc_u64 s[2:3], s[40:41], s[2:3]
	s_barrier_wait -1
	s_cselect_b32 s41, s3, 0
	s_cselect_b32 s40, s2, 0
	s_delay_alu instid0(SALU_CYCLE_1)
	s_cmp_lg_u64 s[40:41], 0
	s_cbranch_scc0 .LBB13_43
; %bb.25:
	s_or_b32 s2, s26, s25
	s_delay_alu instid0(SALU_CYCLE_1) | instskip(SKIP_4) | instid1(SALU_CYCLE_1)
	s_or_b32 s2, s2, s27
	s_cmp_gt_i32 s24, 0
	s_cselect_b32 s57, -1, 0
	s_cmp_lg_u64 s[52:53], 0
	s_cselect_b32 s3, -1, 0
	s_and_b32 s48, s57, s3
	s_cmp_eq_u32 s2, 0
	s_cbranch_scc1 .LBB13_44
; %bb.26:
	s_mov_b32 s58, -1
	s_mov_b32 s56, 0
	s_and_b32 vcc_lo, exec_lo, s48
	s_cbranch_vccz .LBB13_142
; %bb.27:
	s_mov_b32 s2, exec_lo
	s_barrier_signal -1
	s_barrier_wait -1
	s_wait_xcnt 0x0
	v_cmpx_gt_u32_e64 s24, v41
	s_cbranch_execz .LBB13_30
; %bb.28:
	v_mov_b32_e32 v0, v41
	s_mov_b32 s3, 0
.LBB13_29:                              ; =>This Inner Loop Header: Depth=1
	global_store_b32 v0, v0, s[40:41] scale_offset
	s_wait_xcnt 0x0
	v_add_nc_u32_e32 v0, s46, v0
	s_delay_alu instid0(VALU_DEP_1) | instskip(SKIP_1) | instid1(SALU_CYCLE_1)
	v_cmp_le_u32_e32 vcc_lo, s24, v0
	s_or_b32 s3, vcc_lo, s3
	s_and_not1_b32 exec_lo, exec_lo, s3
	s_cbranch_execnz .LBB13_29
.LBB13_30:
	s_or_b32 exec_lo, exec_lo, s2
	v_or3_b32 v0, v43, v44, v42
	s_mov_b32 s12, exec_lo
	s_wait_storecnt 0x0
	s_barrier_signal -1
	s_barrier_wait -1
	v_cmpx_eq_u32_e32 0, v0
	s_cbranch_execz .LBB13_126
; %bb.31:
	s_cmp_lt_u32 s24, 0x2be
	s_cbranch_scc1 .LBB13_45
; %bb.32:
	v_mov_b32_e32 v0, 0
	s_mov_b64 s[2:3], 0xfffffffffffff50c
	s_add_nc_u64 s[4:5], s[40:41], 0xaf4
	s_movk_i32 s13, 0x2bd
	s_movk_i32 s14, 0x57a
	s_mov_b64 s[6:7], s[36:37]
	s_branch .LBB13_34
.LBB13_33:                              ;   in Loop: Header=BB13_34 Depth=1
	v_mov_b32_e32 v3, s8
	s_add_co_i32 s13, s13, 1
	s_add_co_i32 s14, s14, 1
	s_add_nc_u64 s[4:5], s[4:5], 4
	s_add_nc_u64 s[6:7], s[6:7], 4
	s_cmp_eq_u32 s13, s24
	s_clause 0x1
	global_store_b32 v3, v1, s[36:37] scale_offset
	global_store_b32 v3, v2, s[40:41] scale_offset
	s_cbranch_scc1 .LBB13_45
.LBB13_34:                              ; =>This Loop Header: Depth=1
                                        ;     Child Loop BB13_35 Depth 2
	s_wait_xcnt 0x0
	v_mov_b32_e32 v3, s13
	s_mov_b64 s[8:9], s[6:7]
	s_mov_b64 s[10:11], s[4:5]
	s_mov_b32 s15, s14
	s_clause 0x1
	global_load_b32 v1, v3, s[36:37] scale_offset
	global_load_b32 v2, v3, s[40:41] scale_offset
.LBB13_35:                              ;   Parent Loop BB13_34 Depth=1
                                        ; =>  This Inner Loop Header: Depth=2
	global_load_b32 v3, v0, s[8:9]
	s_mov_b32 s17, -1
	s_mov_b32 s18, -1
                                        ; implicit-def: $sgpr16
	s_wait_loadcnt 0x0
	v_cmp_nlt_f32_e32 vcc_lo, v3, v1
	s_cbranch_vccnz .LBB13_37
; %bb.36:                               ;   in Loop: Header=BB13_35 Depth=2
	global_load_b32 v4, v0, s[10:11] offset:-2804
	s_add_co_i32 s16, s15, 0xfffffd43
	s_add_nc_u64 s[30:31], s[10:11], s[2:3]
	s_cmp_lt_i32 s16, 0x57a
	global_store_b32 v0, v3, s[8:9] offset:2804
	s_wait_xcnt 0x0
	s_add_nc_u64 s[8:9], s[8:9], s[2:3]
	s_mov_b32 s17, 0
	s_cselect_b32 s18, -1, 0
	s_wait_loadcnt 0x0
	global_store_b32 v0, v4, s[10:11]
	s_wait_xcnt 0x0
	s_mov_b64 s[10:11], s[30:31]
.LBB13_37:                              ;   in Loop: Header=BB13_35 Depth=2
	s_and_not1_b32 vcc_lo, exec_lo, s18
	s_cbranch_vccz .LBB13_39
; %bb.38:                               ;   in Loop: Header=BB13_35 Depth=2
	s_mov_b32 s15, s16
	s_branch .LBB13_35
.LBB13_39:                              ;   in Loop: Header=BB13_34 Depth=1
	s_and_not1_b32 vcc_lo, exec_lo, s17
	s_wait_xcnt 0x0
	s_mov_b32 s9, -1
                                        ; implicit-def: $sgpr8
	s_cbranch_vccz .LBB13_41
; %bb.40:                               ;   in Loop: Header=BB13_34 Depth=1
	s_add_co_i32 s8, s16, 0xfffffd43
	s_mov_b32 s9, 0
.LBB13_41:                              ;   in Loop: Header=BB13_34 Depth=1
	s_delay_alu instid0(SALU_CYCLE_1)
	s_and_not1_b32 vcc_lo, exec_lo, s9
	s_cbranch_vccnz .LBB13_33
; %bb.42:                               ;   in Loop: Header=BB13_34 Depth=1
	s_add_co_i32 s8, s15, 0xfffffd43
	s_branch .LBB13_33
.LBB13_43:
	s_branch .LBB13_284
.LBB13_44:
	s_mov_b32 s56, 0
	s_cbranch_execnz .LBB13_168
	s_branch .LBB13_279
.LBB13_45:
	s_cmp_lt_i32 s24, 0x12e
	s_cbranch_scc1 .LBB13_57
; %bb.46:
	v_mov_b32_e32 v0, 0
	s_mov_b64 s[2:3], 0xfffffffffffffb4c
	s_add_nc_u64 s[4:5], s[40:41], 0x4b4
	s_movk_i32 s13, 0x12d
	s_movk_i32 s14, 0x25a
	s_mov_b64 s[6:7], s[36:37]
	s_branch .LBB13_48
.LBB13_47:                              ;   in Loop: Header=BB13_48 Depth=1
	v_mov_b32_e32 v3, s8
	s_add_co_i32 s13, s13, 1
	s_add_co_i32 s14, s14, 1
	s_add_nc_u64 s[4:5], s[4:5], 4
	s_add_nc_u64 s[6:7], s[6:7], 4
	s_cmp_lg_u32 s13, s24
	s_clause 0x1
	global_store_b32 v3, v1, s[36:37] scale_offset
	global_store_b32 v3, v2, s[40:41] scale_offset
	s_cbranch_scc0 .LBB13_57
.LBB13_48:                              ; =>This Loop Header: Depth=1
                                        ;     Child Loop BB13_49 Depth 2
	s_wait_xcnt 0x0
	v_mov_b32_e32 v3, s13
	s_mov_b64 s[8:9], s[6:7]
	s_mov_b64 s[10:11], s[4:5]
	s_mov_b32 s15, s14
	s_clause 0x1
	global_load_b32 v1, v3, s[36:37] scale_offset
	global_load_b32 v2, v3, s[40:41] scale_offset
.LBB13_49:                              ;   Parent Loop BB13_48 Depth=1
                                        ; =>  This Inner Loop Header: Depth=2
	global_load_b32 v3, v0, s[8:9]
	s_mov_b32 s17, -1
	s_mov_b32 s18, -1
                                        ; implicit-def: $sgpr16
	s_wait_loadcnt 0x0
	v_cmp_nlt_f32_e32 vcc_lo, v3, v1
	s_cbranch_vccnz .LBB13_51
; %bb.50:                               ;   in Loop: Header=BB13_49 Depth=2
	global_load_b32 v4, v0, s[10:11] offset:-1204
	s_add_co_i32 s16, s15, 0xfffffed3
	s_add_nc_u64 s[30:31], s[10:11], s[2:3]
	s_cmp_lt_i32 s16, 0x25a
	global_store_b32 v0, v3, s[8:9] offset:1204
	s_wait_xcnt 0x0
	s_add_nc_u64 s[8:9], s[8:9], s[2:3]
	s_mov_b32 s17, 0
	s_cselect_b32 s18, -1, 0
	s_wait_loadcnt 0x0
	global_store_b32 v0, v4, s[10:11]
	s_wait_xcnt 0x0
	s_mov_b64 s[10:11], s[30:31]
.LBB13_51:                              ;   in Loop: Header=BB13_49 Depth=2
	s_and_not1_b32 vcc_lo, exec_lo, s18
	s_cbranch_vccz .LBB13_53
; %bb.52:                               ;   in Loop: Header=BB13_49 Depth=2
	s_mov_b32 s15, s16
	s_branch .LBB13_49
.LBB13_53:                              ;   in Loop: Header=BB13_48 Depth=1
	s_and_not1_b32 vcc_lo, exec_lo, s17
	s_wait_xcnt 0x0
	s_mov_b32 s9, -1
                                        ; implicit-def: $sgpr8
	s_cbranch_vccz .LBB13_55
; %bb.54:                               ;   in Loop: Header=BB13_48 Depth=1
	s_add_co_i32 s8, s16, 0xfffffed3
	s_mov_b32 s9, 0
.LBB13_55:                              ;   in Loop: Header=BB13_48 Depth=1
	s_delay_alu instid0(SALU_CYCLE_1)
	s_and_not1_b32 vcc_lo, exec_lo, s9
	s_cbranch_vccnz .LBB13_47
; %bb.56:                               ;   in Loop: Header=BB13_48 Depth=1
	s_add_co_i32 s8, s15, 0xfffffed3
	s_branch .LBB13_47
.LBB13_57:
	s_cmp_lt_i32 s24, 0x85
	s_cbranch_scc1 .LBB13_69
; %bb.58:
	v_mov_b32_e32 v0, 0
	s_mov_b64 s[2:3], 0xfffffffffffffdf0
	s_add_nc_u64 s[4:5], s[40:41], 0x210
	s_movk_i32 s13, 0x84
	s_movk_i32 s14, 0x108
	s_mov_b64 s[6:7], s[36:37]
	s_branch .LBB13_60
.LBB13_59:                              ;   in Loop: Header=BB13_60 Depth=1
	v_mov_b32_e32 v3, s8
	s_add_co_i32 s13, s13, 1
	s_add_co_i32 s14, s14, 1
	s_add_nc_u64 s[4:5], s[4:5], 4
	s_add_nc_u64 s[6:7], s[6:7], 4
	s_cmp_lg_u32 s13, s24
	s_clause 0x1
	global_store_b32 v3, v1, s[36:37] scale_offset
	global_store_b32 v3, v2, s[40:41] scale_offset
	s_cbranch_scc0 .LBB13_69
.LBB13_60:                              ; =>This Loop Header: Depth=1
                                        ;     Child Loop BB13_61 Depth 2
	s_wait_xcnt 0x0
	v_mov_b32_e32 v3, s13
	s_mov_b64 s[8:9], s[6:7]
	s_mov_b64 s[10:11], s[4:5]
	s_mov_b32 s15, s14
	s_clause 0x1
	global_load_b32 v1, v3, s[36:37] scale_offset
	global_load_b32 v2, v3, s[40:41] scale_offset
.LBB13_61:                              ;   Parent Loop BB13_60 Depth=1
                                        ; =>  This Inner Loop Header: Depth=2
	global_load_b32 v3, v0, s[8:9]
	s_mov_b32 s17, -1
	s_mov_b32 s18, -1
                                        ; implicit-def: $sgpr16
	s_wait_loadcnt 0x0
	v_cmp_nlt_f32_e32 vcc_lo, v3, v1
	s_cbranch_vccnz .LBB13_63
; %bb.62:                               ;   in Loop: Header=BB13_61 Depth=2
	global_load_b32 v4, v0, s[10:11] offset:-528
	s_add_co_i32 s16, s15, 0xffffff7c
	s_add_nc_u64 s[30:31], s[10:11], s[2:3]
	s_cmp_lt_i32 s16, 0x108
	global_store_b32 v0, v3, s[8:9] offset:528
	s_wait_xcnt 0x0
	s_add_nc_u64 s[8:9], s[8:9], s[2:3]
	s_mov_b32 s17, 0
	s_cselect_b32 s18, -1, 0
	s_wait_loadcnt 0x0
	global_store_b32 v0, v4, s[10:11]
	s_wait_xcnt 0x0
	s_mov_b64 s[10:11], s[30:31]
.LBB13_63:                              ;   in Loop: Header=BB13_61 Depth=2
	s_and_not1_b32 vcc_lo, exec_lo, s18
	s_cbranch_vccz .LBB13_65
; %bb.64:                               ;   in Loop: Header=BB13_61 Depth=2
	s_mov_b32 s15, s16
	s_branch .LBB13_61
.LBB13_65:                              ;   in Loop: Header=BB13_60 Depth=1
	s_and_not1_b32 vcc_lo, exec_lo, s17
	s_wait_xcnt 0x0
	s_mov_b32 s9, -1
                                        ; implicit-def: $sgpr8
	s_cbranch_vccz .LBB13_67
; %bb.66:                               ;   in Loop: Header=BB13_60 Depth=1
	s_add_co_i32 s8, s16, 0xffffff7c
	s_mov_b32 s9, 0
.LBB13_67:                              ;   in Loop: Header=BB13_60 Depth=1
	s_delay_alu instid0(SALU_CYCLE_1)
	s_and_not1_b32 vcc_lo, exec_lo, s9
	s_cbranch_vccnz .LBB13_59
; %bb.68:                               ;   in Loop: Header=BB13_60 Depth=1
	s_add_co_i32 s8, s15, 0xffffff7c
	s_branch .LBB13_59
.LBB13_69:
	s_cmp_lt_i32 s24, 58
	s_cbranch_scc1 .LBB13_81
; %bb.70:
	v_mov_b32_e32 v0, 0
	s_mov_b64 s[2:3], 0xffffffffffffff1c
	s_add_nc_u64 s[4:5], s[40:41], 0xe4
	s_mov_b32 s13, 57
	s_movk_i32 s14, 0x72
	s_mov_b64 s[6:7], s[36:37]
	s_branch .LBB13_72
.LBB13_71:                              ;   in Loop: Header=BB13_72 Depth=1
	v_mov_b32_e32 v3, s8
	s_add_co_i32 s13, s13, 1
	s_add_co_i32 s14, s14, 1
	s_add_nc_u64 s[4:5], s[4:5], 4
	s_add_nc_u64 s[6:7], s[6:7], 4
	s_cmp_lg_u32 s13, s24
	s_clause 0x1
	global_store_b32 v3, v1, s[36:37] scale_offset
	global_store_b32 v3, v2, s[40:41] scale_offset
	s_cbranch_scc0 .LBB13_81
.LBB13_72:                              ; =>This Loop Header: Depth=1
                                        ;     Child Loop BB13_73 Depth 2
	s_wait_xcnt 0x0
	v_mov_b32_e32 v3, s13
	s_mov_b64 s[8:9], s[6:7]
	s_mov_b64 s[10:11], s[4:5]
	s_mov_b32 s15, s14
	s_clause 0x1
	global_load_b32 v1, v3, s[36:37] scale_offset
	global_load_b32 v2, v3, s[40:41] scale_offset
.LBB13_73:                              ;   Parent Loop BB13_72 Depth=1
                                        ; =>  This Inner Loop Header: Depth=2
	global_load_b32 v3, v0, s[8:9]
	s_mov_b32 s17, -1
	s_mov_b32 s18, -1
                                        ; implicit-def: $sgpr16
	s_wait_loadcnt 0x0
	v_cmp_nlt_f32_e32 vcc_lo, v3, v1
	s_cbranch_vccnz .LBB13_75
; %bb.74:                               ;   in Loop: Header=BB13_73 Depth=2
	global_load_b32 v4, v0, s[10:11] offset:-228
	s_sub_co_i32 s16, s15, 57
	s_add_nc_u64 s[30:31], s[10:11], s[2:3]
	s_cmp_lt_i32 s16, 0x72
	global_store_b32 v0, v3, s[8:9] offset:228
	s_wait_xcnt 0x0
	s_add_nc_u64 s[8:9], s[8:9], s[2:3]
	s_mov_b32 s17, 0
	s_cselect_b32 s18, -1, 0
	s_wait_loadcnt 0x0
	global_store_b32 v0, v4, s[10:11]
	s_wait_xcnt 0x0
	s_mov_b64 s[10:11], s[30:31]
.LBB13_75:                              ;   in Loop: Header=BB13_73 Depth=2
	s_and_not1_b32 vcc_lo, exec_lo, s18
	s_cbranch_vccz .LBB13_77
; %bb.76:                               ;   in Loop: Header=BB13_73 Depth=2
	s_mov_b32 s15, s16
	s_branch .LBB13_73
.LBB13_77:                              ;   in Loop: Header=BB13_72 Depth=1
	s_and_not1_b32 vcc_lo, exec_lo, s17
	s_wait_xcnt 0x0
	s_mov_b32 s9, -1
                                        ; implicit-def: $sgpr8
	s_cbranch_vccz .LBB13_79
; %bb.78:                               ;   in Loop: Header=BB13_72 Depth=1
	s_sub_co_i32 s8, s16, 57
	s_mov_b32 s9, 0
.LBB13_79:                              ;   in Loop: Header=BB13_72 Depth=1
	s_delay_alu instid0(SALU_CYCLE_1)
	s_and_not1_b32 vcc_lo, exec_lo, s9
	s_cbranch_vccnz .LBB13_71
; %bb.80:                               ;   in Loop: Header=BB13_72 Depth=1
	s_sub_co_i32 s8, s15, 57
	s_branch .LBB13_71
.LBB13_81:
	s_cmp_lt_i32 s24, 24
	s_cbranch_scc1 .LBB13_93
; %bb.82:
	v_mov_b32_e32 v0, 0
	s_mov_b64 s[2:3], 0xffffffffffffffa4
	s_add_nc_u64 s[4:5], s[40:41], 0x5c
	s_mov_b32 s13, 23
	s_mov_b32 s14, 46
	s_mov_b64 s[6:7], s[36:37]
	s_branch .LBB13_84
.LBB13_83:                              ;   in Loop: Header=BB13_84 Depth=1
	v_mov_b32_e32 v3, s8
	s_add_co_i32 s13, s13, 1
	s_add_co_i32 s14, s14, 1
	s_add_nc_u64 s[4:5], s[4:5], 4
	s_add_nc_u64 s[6:7], s[6:7], 4
	s_cmp_lg_u32 s13, s24
	s_clause 0x1
	global_store_b32 v3, v1, s[36:37] scale_offset
	global_store_b32 v3, v2, s[40:41] scale_offset
	s_cbranch_scc0 .LBB13_93
.LBB13_84:                              ; =>This Loop Header: Depth=1
                                        ;     Child Loop BB13_85 Depth 2
	s_wait_xcnt 0x0
	v_mov_b32_e32 v3, s13
	s_mov_b64 s[8:9], s[6:7]
	s_mov_b64 s[10:11], s[4:5]
	s_mov_b32 s15, s14
	s_clause 0x1
	global_load_b32 v1, v3, s[36:37] scale_offset
	global_load_b32 v2, v3, s[40:41] scale_offset
.LBB13_85:                              ;   Parent Loop BB13_84 Depth=1
                                        ; =>  This Inner Loop Header: Depth=2
	global_load_b32 v3, v0, s[8:9]
	s_mov_b32 s17, -1
	s_mov_b32 s18, -1
                                        ; implicit-def: $sgpr16
	s_wait_loadcnt 0x0
	v_cmp_nlt_f32_e32 vcc_lo, v3, v1
	s_cbranch_vccnz .LBB13_87
; %bb.86:                               ;   in Loop: Header=BB13_85 Depth=2
	global_load_b32 v4, v0, s[10:11] offset:-92
	s_sub_co_i32 s16, s15, 23
	s_add_nc_u64 s[30:31], s[10:11], s[2:3]
	s_cmp_lt_i32 s16, 46
	global_store_b32 v0, v3, s[8:9] offset:92
	s_wait_xcnt 0x0
	s_add_nc_u64 s[8:9], s[8:9], s[2:3]
	s_mov_b32 s17, 0
	s_cselect_b32 s18, -1, 0
	s_wait_loadcnt 0x0
	global_store_b32 v0, v4, s[10:11]
	s_wait_xcnt 0x0
	s_mov_b64 s[10:11], s[30:31]
.LBB13_87:                              ;   in Loop: Header=BB13_85 Depth=2
	s_and_not1_b32 vcc_lo, exec_lo, s18
	s_cbranch_vccz .LBB13_89
; %bb.88:                               ;   in Loop: Header=BB13_85 Depth=2
	s_mov_b32 s15, s16
	s_branch .LBB13_85
.LBB13_89:                              ;   in Loop: Header=BB13_84 Depth=1
	s_and_not1_b32 vcc_lo, exec_lo, s17
	s_wait_xcnt 0x0
	s_mov_b32 s9, -1
                                        ; implicit-def: $sgpr8
	s_cbranch_vccz .LBB13_91
; %bb.90:                               ;   in Loop: Header=BB13_84 Depth=1
	s_sub_co_i32 s8, s16, 23
	s_mov_b32 s9, 0
.LBB13_91:                              ;   in Loop: Header=BB13_84 Depth=1
	s_delay_alu instid0(SALU_CYCLE_1)
	s_and_not1_b32 vcc_lo, exec_lo, s9
	s_cbranch_vccnz .LBB13_83
; %bb.92:                               ;   in Loop: Header=BB13_84 Depth=1
	s_sub_co_i32 s8, s15, 23
	s_branch .LBB13_83
.LBB13_93:
	s_cmp_lt_i32 s24, 11
	s_cbranch_scc1 .LBB13_105
; %bb.94:
	v_mov_b32_e32 v0, 0
	s_mov_b64 s[2:3], 0xffffffffffffffd8
	s_add_nc_u64 s[4:5], s[40:41], 40
	s_mov_b32 s13, 10
	s_mov_b32 s14, 20
	s_mov_b64 s[6:7], s[36:37]
	s_branch .LBB13_96
.LBB13_95:                              ;   in Loop: Header=BB13_96 Depth=1
	v_mov_b32_e32 v3, s8
	s_add_co_i32 s13, s13, 1
	s_add_co_i32 s14, s14, 1
	s_add_nc_u64 s[4:5], s[4:5], 4
	s_add_nc_u64 s[6:7], s[6:7], 4
	s_cmp_lg_u32 s13, s24
	s_clause 0x1
	global_store_b32 v3, v1, s[36:37] scale_offset
	global_store_b32 v3, v2, s[40:41] scale_offset
	s_cbranch_scc0 .LBB13_105
.LBB13_96:                              ; =>This Loop Header: Depth=1
                                        ;     Child Loop BB13_97 Depth 2
	s_wait_xcnt 0x0
	v_mov_b32_e32 v3, s13
	s_mov_b64 s[8:9], s[6:7]
	s_mov_b64 s[10:11], s[4:5]
	s_mov_b32 s15, s14
	s_clause 0x1
	global_load_b32 v1, v3, s[36:37] scale_offset
	global_load_b32 v2, v3, s[40:41] scale_offset
.LBB13_97:                              ;   Parent Loop BB13_96 Depth=1
                                        ; =>  This Inner Loop Header: Depth=2
	global_load_b32 v3, v0, s[8:9]
	s_mov_b32 s17, -1
	s_mov_b32 s18, -1
                                        ; implicit-def: $sgpr16
	s_wait_loadcnt 0x0
	v_cmp_nlt_f32_e32 vcc_lo, v3, v1
	s_cbranch_vccnz .LBB13_99
; %bb.98:                               ;   in Loop: Header=BB13_97 Depth=2
	global_load_b32 v4, v0, s[10:11] offset:-40
	s_add_co_i32 s16, s15, -10
	s_add_nc_u64 s[30:31], s[10:11], s[2:3]
	s_cmp_lt_i32 s16, 20
	global_store_b32 v0, v3, s[8:9] offset:40
	s_wait_xcnt 0x0
	s_add_nc_u64 s[8:9], s[8:9], s[2:3]
	s_mov_b32 s17, 0
	s_cselect_b32 s18, -1, 0
	s_wait_loadcnt 0x0
	global_store_b32 v0, v4, s[10:11]
	s_wait_xcnt 0x0
	s_mov_b64 s[10:11], s[30:31]
.LBB13_99:                              ;   in Loop: Header=BB13_97 Depth=2
	s_and_not1_b32 vcc_lo, exec_lo, s18
	s_cbranch_vccz .LBB13_101
; %bb.100:                              ;   in Loop: Header=BB13_97 Depth=2
	s_mov_b32 s15, s16
	s_branch .LBB13_97
.LBB13_101:                             ;   in Loop: Header=BB13_96 Depth=1
	s_and_not1_b32 vcc_lo, exec_lo, s17
	s_wait_xcnt 0x0
	s_mov_b32 s9, -1
                                        ; implicit-def: $sgpr8
	s_cbranch_vccz .LBB13_103
; %bb.102:                              ;   in Loop: Header=BB13_96 Depth=1
	s_add_co_i32 s8, s16, -10
	s_mov_b32 s9, 0
.LBB13_103:                             ;   in Loop: Header=BB13_96 Depth=1
	s_delay_alu instid0(SALU_CYCLE_1)
	s_and_not1_b32 vcc_lo, exec_lo, s9
	s_cbranch_vccnz .LBB13_95
; %bb.104:                              ;   in Loop: Header=BB13_96 Depth=1
	s_add_co_i32 s8, s15, -10
	s_branch .LBB13_95
.LBB13_105:
	s_cmp_lt_i32 s24, 5
	s_cbranch_scc1 .LBB13_117
; %bb.106:
	v_mov_b32_e32 v0, 0
	s_add_nc_u64 s[4:5], s[52:53], s[50:51]
	s_add_nc_u64 s[2:3], s[40:41], 16
	;; [unrolled: 1-line block ×3, first 2 shown]
	s_mov_b32 s10, 4
	s_mov_b32 s11, 8
	s_branch .LBB13_108
.LBB13_107:                             ;   in Loop: Header=BB13_108 Depth=1
	v_mov_b32_e32 v3, s6
	s_add_co_i32 s10, s10, 1
	s_add_co_i32 s11, s11, 1
	s_add_nc_u64 s[2:3], s[2:3], 4
	s_add_nc_u64 s[4:5], s[4:5], 4
	s_cmp_lg_u32 s10, s24
	s_clause 0x1
	global_store_b32 v3, v1, s[36:37] scale_offset
	global_store_b32 v3, v2, s[40:41] scale_offset
	s_cbranch_scc0 .LBB13_117
.LBB13_108:                             ; =>This Loop Header: Depth=1
                                        ;     Child Loop BB13_109 Depth 2
	s_wait_xcnt 0x0
	v_mov_b32_e32 v3, s10
	s_mov_b64 s[6:7], s[4:5]
	s_mov_b64 s[8:9], s[2:3]
	s_mov_b32 s13, s11
	s_clause 0x1
	global_load_b32 v1, v3, s[36:37] scale_offset
	global_load_b32 v2, v3, s[40:41] scale_offset
.LBB13_109:                             ;   Parent Loop BB13_108 Depth=1
                                        ; =>  This Inner Loop Header: Depth=2
	global_load_b32 v3, v0, s[6:7] offset:-16
	s_mov_b32 s15, -1
	s_mov_b32 s16, -1
                                        ; implicit-def: $sgpr14
	s_wait_loadcnt 0x0
	v_cmp_nlt_f32_e32 vcc_lo, v3, v1
	s_cbranch_vccnz .LBB13_111
; %bb.110:                              ;   in Loop: Header=BB13_109 Depth=2
	global_load_b32 v4, v0, s[8:9] offset:-16
	s_add_co_i32 s14, s13, -4
	s_add_nc_u64 s[18:19], s[8:9], -16
	s_cmp_lt_i32 s14, 8
	s_mov_b32 s15, 0
	s_cselect_b32 s16, -1, 0
	global_store_b32 v0, v3, s[6:7]
	s_wait_loadcnt 0x0
	global_store_b32 v0, v4, s[8:9]
	s_wait_xcnt 0x0
	s_mov_b64 s[8:9], s[18:19]
.LBB13_111:                             ;   in Loop: Header=BB13_109 Depth=2
	s_and_not1_b32 vcc_lo, exec_lo, s16
	s_wait_xcnt 0x0
	s_add_nc_u64 s[6:7], s[6:7], -16
	s_cbranch_vccz .LBB13_113
; %bb.112:                              ;   in Loop: Header=BB13_109 Depth=2
	s_mov_b32 s13, s14
	s_branch .LBB13_109
.LBB13_113:                             ;   in Loop: Header=BB13_108 Depth=1
	s_and_not1_b32 vcc_lo, exec_lo, s15
	s_mov_b32 s7, -1
                                        ; implicit-def: $sgpr6
	s_cbranch_vccz .LBB13_115
; %bb.114:                              ;   in Loop: Header=BB13_108 Depth=1
	s_add_co_i32 s6, s14, -4
	s_mov_b32 s7, 0
.LBB13_115:                             ;   in Loop: Header=BB13_108 Depth=1
	s_delay_alu instid0(SALU_CYCLE_1)
	s_and_not1_b32 vcc_lo, exec_lo, s7
	s_cbranch_vccnz .LBB13_107
; %bb.116:                              ;   in Loop: Header=BB13_108 Depth=1
	s_add_co_i32 s6, s13, -4
	s_branch .LBB13_107
.LBB13_117:
	s_cmp_lt_i32 s24, 2
	s_mov_b32 s10, 2
	s_cbranch_scc1 .LBB13_126
; %bb.118:
	v_mov_b32_e32 v0, 0
	s_add_nc_u64 s[4:5], s[52:53], s[50:51]
	s_add_nc_u64 s[2:3], s[40:41], 4
	;; [unrolled: 1-line block ×3, first 2 shown]
	s_mov_b32 s11, 1
	s_branch .LBB13_120
.LBB13_119:                             ;   in Loop: Header=BB13_120 Depth=1
	v_mov_b32_e32 v3, s6
	s_add_co_i32 s11, s11, 1
	s_add_co_i32 s10, s10, 1
	s_add_nc_u64 s[2:3], s[2:3], 4
	s_add_nc_u64 s[4:5], s[4:5], 4
	s_cmp_eq_u32 s11, s24
	s_clause 0x1
	global_store_b32 v3, v1, s[36:37] scale_offset
	global_store_b32 v3, v2, s[40:41] scale_offset
	s_cbranch_scc1 .LBB13_126
.LBB13_120:                             ; =>This Loop Header: Depth=1
                                        ;     Child Loop BB13_122 Depth 2
	s_wait_xcnt 0x0
	v_mov_b32_e32 v3, s11
	s_mov_b64 s[6:7], s[4:5]
	s_mov_b64 s[8:9], s[2:3]
	s_mov_b32 s14, s10
	s_clause 0x1
	global_load_b32 v1, v3, s[36:37] scale_offset
	global_load_b32 v2, v3, s[40:41] scale_offset
	s_branch .LBB13_122
.LBB13_121:                             ;   in Loop: Header=BB13_122 Depth=2
	s_and_not1_b32 vcc_lo, exec_lo, s16
	s_wait_xcnt 0x0
	s_add_nc_u64 s[6:7], s[6:7], -4
	s_cbranch_vccz .LBB13_124
.LBB13_122:                             ;   Parent Loop BB13_120 Depth=1
                                        ; =>  This Inner Loop Header: Depth=2
	global_load_b32 v3, v0, s[6:7] offset:-4
	s_mov_b32 s13, s14
	s_mov_b32 s15, -1
	s_mov_b32 s16, -1
                                        ; implicit-def: $sgpr14
	s_wait_loadcnt 0x0
	v_cmp_nlt_f32_e32 vcc_lo, v3, v1
	s_cbranch_vccnz .LBB13_121
; %bb.123:                              ;   in Loop: Header=BB13_122 Depth=2
	global_load_b32 v4, v0, s[8:9] offset:-4
	s_add_co_i32 s14, s13, -1
	s_add_nc_u64 s[18:19], s[8:9], -4
	s_cmp_lt_i32 s14, 2
	s_mov_b32 s15, 0
	s_cselect_b32 s16, -1, 0
	global_store_b32 v0, v3, s[6:7]
	s_wait_loadcnt 0x0
	global_store_b32 v0, v4, s[8:9]
	s_wait_xcnt 0x0
	s_mov_b64 s[8:9], s[18:19]
	s_branch .LBB13_121
.LBB13_124:                             ;   in Loop: Header=BB13_120 Depth=1
	s_and_b32 vcc_lo, exec_lo, s15
	s_mov_b32 s6, 0
	s_cbranch_vccz .LBB13_119
; %bb.125:                              ;   in Loop: Header=BB13_120 Depth=1
	s_add_co_i32 s6, s13, -1
	s_branch .LBB13_119
.LBB13_126:
	s_wait_xcnt 0x0
	s_or_b32 exec_lo, exec_lo, s12
	s_cmp_lt_i32 s24, 2
	s_mov_b32 s58, 0
	s_cselect_b32 s5, -1, 0
	s_wait_storecnt 0x0
	s_and_b32 vcc_lo, exec_lo, s5
	s_barrier_signal -1
	s_barrier_wait -1
	s_cbranch_vccnz .LBB13_134
; %bb.127:
	s_add_co_i32 s4, s24, -1
	s_mov_b32 s5, -1
	s_mov_b32 s2, 0
	s_mov_b32 s3, exec_lo
	v_cmpx_gt_u32_e64 s4, v41
	s_cbranch_execz .LBB13_136
; %bb.128:
	v_dual_mov_b32 v1, 0 :: v_dual_mov_b32 v0, v41
	s_mov_b32 s5, 0
                                        ; implicit-def: $sgpr6
	s_branch .LBB13_130
.LBB13_129:                             ;   in Loop: Header=BB13_130 Depth=1
	s_or_b32 exec_lo, exec_lo, s9
	s_xor_b32 s7, s8, -1
	s_and_b32 s2, exec_lo, s2
	s_delay_alu instid0(SALU_CYCLE_1) | instskip(SKIP_2) | instid1(SALU_CYCLE_1)
	s_or_b32 s5, s2, s5
	s_and_not1_b32 s2, s6, exec_lo
	s_and_b32 s6, s7, exec_lo
	s_or_b32 s6, s2, s6
	s_and_not1_b32 exec_lo, exec_lo, s5
	s_cbranch_execz .LBB13_135
.LBB13_130:                             ; =>This Inner Loop Header: Depth=1
	global_load_b32 v2, v0, s[36:37] scale_offset
	s_mov_b32 s8, exec_lo
	s_wait_loadcnt 0x0
	v_cmp_u_f32_e64 s7, v2, v2
	v_cmpx_o_f32_e32 v2, v2
	s_cbranch_execz .LBB13_132
; %bb.131:                              ;   in Loop: Header=BB13_130 Depth=1
	v_lshl_add_u64 v[4:5], v[0:1], 2, s[36:37]
	s_and_not1_b32 s7, s7, exec_lo
	global_load_b32 v3, v[4:5], off offset:4
	s_wait_loadcnt 0x0
	v_cmp_u_f32_e32 vcc_lo, v3, v3
	v_cmp_ge_f32_e64 s2, v2, v3
	s_or_b32 s2, vcc_lo, s2
	s_delay_alu instid0(SALU_CYCLE_1) | instskip(NEXT) | instid1(SALU_CYCLE_1)
	s_and_b32 s2, s2, exec_lo
	s_or_b32 s7, s7, s2
.LBB13_132:                             ;   in Loop: Header=BB13_130 Depth=1
	s_or_b32 exec_lo, exec_lo, s8
	s_mov_b32 s2, -1
	s_mov_b32 s8, -1
	s_and_saveexec_b32 s9, s7
	s_cbranch_execz .LBB13_129
; %bb.133:                              ;   in Loop: Header=BB13_130 Depth=1
	v_add_nc_u32_e32 v0, s46, v0
	s_xor_b32 s8, exec_lo, -1
	s_delay_alu instid0(VALU_DEP_1)
	v_cmp_le_u32_e32 vcc_lo, s4, v0
	s_or_not1_b32 s2, vcc_lo, exec_lo
	s_branch .LBB13_129
.LBB13_134:
	s_mov_b32 s2, 0
	s_branch .LBB13_137
.LBB13_135:
	s_or_b32 exec_lo, exec_lo, s5
	s_delay_alu instid0(SALU_CYCLE_1)
	s_mov_b32 s2, exec_lo
	s_or_not1_b32 s5, s6, exec_lo
.LBB13_136:
	s_or_b32 exec_lo, exec_lo, s3
.LBB13_137:
	s_and_saveexec_b32 s3, s5
	s_cbranch_execz .LBB13_139
; %bb.138:
	s_mov_b32 s58, exec_lo
	s_barrier_signal -1
	s_barrier_wait -1
	s_and_not1_b32 s2, s2, exec_lo
.LBB13_139:
	s_or_b32 exec_lo, exec_lo, s3
	s_mov_b32 s54, 0
	s_and_saveexec_b32 s59, s2
	s_cbranch_execz .LBB13_141
; %bb.140:
	s_get_pc_i64 s[2:3]
	s_add_nc_u64 s[2:3], s[2:3], __PRETTY_FUNCTION__._ZN9rocsolver6v33100L21shell_sort_descendingIfiEEvT0_PT_PS2_@rel64+4
	s_add_nc_u64 s[8:9], s[0:1], 0x90
	v_dual_mov_b32 v0, s2 :: v_dual_mov_b32 v1, s3
	s_get_pc_i64 s[4:5]
	s_add_nc_u64 s[4:5], s[4:5], __assert_fail@rel64+4
	s_mov_b64 s[54:55], s[0:1]
	s_swap_pc_i64 s[30:31], s[4:5]
	s_mov_b64 s[0:1], s[54:55]
	s_mov_b32 s54, exec_lo
.LBB13_141:
	s_or_b32 exec_lo, exec_lo, s59
.LBB13_142:
	s_wait_xcnt 0x0
	s_and_saveexec_b32 s20, s58
	s_cbranch_execz .LBB13_167
; %bb.143:
	s_and_not1_b32 vcc_lo, exec_lo, s57
	s_wait_storecnt 0x0
	s_barrier_signal -1
	s_barrier_wait -1
	s_cbranch_vccnz .LBB13_166
; %bb.144:
	s_cmp_gt_i32 s25, 0
	v_cmp_eq_u32_e64 s2, 0, v41
	s_cselect_b32 s30, -1, 0
	s_ashr_i32 s9, s47, 31
	s_cmp_gt_i32 s26, 0
	v_cmp_gt_u32_e64 s3, s25, v41
	s_cselect_b32 s31, -1, 0
	v_cmp_gt_u32_e64 s4, s26, v41
	s_ashr_i32 s11, s43, 31
	v_cmp_gt_u32_e64 s5, s27, v41
	v_mov_b32_e32 v1, 0
	s_mov_b32 s7, 0
	s_cmp_gt_i32 s27, 0
	s_mov_b32 s8, s47
	s_mov_b32 s10, s43
	s_cselect_b32 s33, -1, 0
	s_ashr_i32 s13, s49, 31
	s_mov_b32 s12, s49
	s_mov_b32 s6, s7
	s_branch .LBB13_146
.LBB13_145:                             ;   in Loop: Header=BB13_146 Depth=1
	s_add_co_i32 s6, s6, 1
	s_delay_alu instid0(SALU_CYCLE_1)
	s_cmp_eq_u32 s6, s24
	s_cbranch_scc1 .LBB13_166
.LBB13_146:                             ; =>This Loop Header: Depth=1
                                        ;     Child Loop BB13_150 Depth 2
                                        ;       Child Loop BB13_155 Depth 3
                                        ;       Child Loop BB13_160 Depth 3
	;; [unrolled: 1-line block ×3, first 2 shown]
	v_mov_b32_e32 v0, s6
	global_load_b32 v2, v0, s[40:41] scale_offset
	s_wait_loadcnt 0x0
	v_cmp_eq_u32_e32 vcc_lo, s6, v2
	s_cbranch_vccnz .LBB13_145
; %bb.147:                              ;   in Loop: Header=BB13_146 Depth=1
	s_lshl_b64 s[14:15], s[6:7], 2
	s_delay_alu instid0(SALU_CYCLE_1)
	s_add_nc_u64 s[14:15], s[40:41], s[14:15]
	s_branch .LBB13_150
.LBB13_148:                             ;   in Loop: Header=BB13_150 Depth=2
	s_or_b32 exec_lo, exec_lo, s18
	s_wait_storecnt 0x0
	s_barrier_signal -1
	s_barrier_wait -1
.LBB13_149:                             ;   in Loop: Header=BB13_150 Depth=2
	global_load_b32 v2, v1, s[14:15]
	s_wait_loadcnt 0x0
	v_cmp_ne_u32_e32 vcc_lo, s6, v2
	s_cbranch_vccz .LBB13_145
.LBB13_150:                             ;   Parent Loop BB13_146 Depth=1
                                        ; =>  This Loop Header: Depth=2
                                        ;       Child Loop BB13_155 Depth 3
                                        ;       Child Loop BB13_160 Depth 3
	;; [unrolled: 1-line block ×3, first 2 shown]
	global_load_b32 v0, v2, s[40:41] scale_offset
	v_ashrrev_i32_e32 v3, 31, v2
	s_wait_loadcnt 0x0
	s_barrier_signal -1
	s_barrier_wait -1
	v_readfirstlane_b32 s16, v0
	s_wait_xcnt 0x0
	s_and_saveexec_b32 s17, s2
	s_cbranch_execz .LBB13_152
; %bb.151:                              ;   in Loop: Header=BB13_150 Depth=2
	v_lshlrev_b64_e32 v[4:5], 2, v[2:3]
	v_mov_b32_e32 v0, s16
	s_delay_alu instid0(VALU_DEP_2)
	v_add_nc_u64_e32 v[4:5], s[40:41], v[4:5]
	s_clause 0x1
	global_store_b32 v[4:5], v2, off
	global_store_b32 v1, v0, s[14:15]
.LBB13_152:                             ;   in Loop: Header=BB13_150 Depth=2
	s_wait_xcnt 0x0
	s_or_b32 exec_lo, exec_lo, s17
	s_delay_alu instid0(SALU_CYCLE_1)
	s_and_not1_b32 vcc_lo, exec_lo, s30
	s_wait_storecnt 0x0
	s_barrier_signal -1
	s_barrier_wait -1
	s_cbranch_vccnz .LBB13_157
; %bb.153:                              ;   in Loop: Header=BB13_150 Depth=2
	s_and_saveexec_b32 s18, s3
	s_cbranch_execz .LBB13_156
; %bb.154:                              ;   in Loop: Header=BB13_150 Depth=2
	v_mov_b32_e32 v0, v41
	s_ashr_i32 s17, s16, 31
	s_mov_b32 s19, 0
.LBB13_155:                             ;   Parent Loop BB13_146 Depth=1
                                        ;     Parent Loop BB13_150 Depth=2
                                        ; =>    This Inner Loop Header: Depth=3
	s_delay_alu instid0(VALU_DEP_1) | instskip(SKIP_1) | instid1(VALU_DEP_1)
	v_mul_u64_e32 v[4:5], s[8:9], v[0:1]
	v_add_nc_u32_e32 v0, s46, v0
	v_cmp_le_u32_e32 vcc_lo, s25, v0
	s_or_b32 s19, vcc_lo, s19
	s_delay_alu instid0(VALU_DEP_3) | instskip(NEXT) | instid1(VALU_DEP_1)
	v_lshl_add_u64 v[4:5], v[4:5], 2, s[34:35]
	v_lshl_add_u64 v[6:7], s[16:17], 2, v[4:5]
	;; [unrolled: 1-line block ×3, first 2 shown]
	s_clause 0x1
	global_load_b32 v8, v[6:7], off
	global_load_b32 v9, v[4:5], off
	s_wait_loadcnt 0x1
	global_store_b32 v[4:5], v8, off
	s_wait_loadcnt 0x0
	global_store_b32 v[6:7], v9, off
	s_wait_xcnt 0x0
	s_and_not1_b32 exec_lo, exec_lo, s19
	s_cbranch_execnz .LBB13_155
.LBB13_156:                             ;   in Loop: Header=BB13_150 Depth=2
	s_or_b32 exec_lo, exec_lo, s18
	s_wait_storecnt 0x0
	s_barrier_signal -1
	s_barrier_wait -1
.LBB13_157:                             ;   in Loop: Header=BB13_150 Depth=2
	s_and_not1_b32 vcc_lo, exec_lo, s31
	s_cbranch_vccnz .LBB13_162
; %bb.158:                              ;   in Loop: Header=BB13_150 Depth=2
	s_and_saveexec_b32 s55, s4
	s_cbranch_execz .LBB13_161
; %bb.159:                              ;   in Loop: Header=BB13_150 Depth=2
	v_mul_u64_e32 v[4:5], s[10:11], v[2:3]
	s_ashr_i32 s17, s16, 31
	v_mov_b32_e32 v0, v41
	s_mul_u64 s[18:19], s[16:17], s[10:11]
	s_mov_b32 s17, 0
	s_lshl_b64 s[18:19], s[18:19], 2
	s_delay_alu instid0(SALU_CYCLE_1) | instskip(NEXT) | instid1(VALU_DEP_2)
	s_add_nc_u64 s[18:19], s[28:29], s[18:19]
	v_lshlrev_b64_e32 v[4:5], 2, v[4:5]
	s_delay_alu instid0(VALU_DEP_1)
	v_add_nc_u64_e32 v[4:5], s[28:29], v[4:5]
.LBB13_160:                             ;   Parent Loop BB13_146 Depth=1
                                        ;     Parent Loop BB13_150 Depth=2
                                        ; =>    This Inner Loop Header: Depth=3
	s_delay_alu instid0(VALU_DEP_1) | instskip(NEXT) | instid1(VALU_DEP_2)
	v_readfirstlane_b32 s56, v4
	v_readfirstlane_b32 s57, v5
	s_clause 0x1
	global_load_b32 v6, v0, s[18:19] scale_offset
	global_load_b32 v7, v0, s[56:57] scale_offset
	s_wait_loadcnt 0x1
	global_store_b32 v0, v6, s[56:57] scale_offset
	s_wait_loadcnt 0x0
	global_store_b32 v0, v7, s[18:19] scale_offset
	s_wait_xcnt 0x0
	v_add_nc_u32_e32 v0, s46, v0
	s_delay_alu instid0(VALU_DEP_1) | instskip(SKIP_1) | instid1(SALU_CYCLE_1)
	v_cmp_le_u32_e32 vcc_lo, s26, v0
	s_or_b32 s17, vcc_lo, s17
	s_and_not1_b32 exec_lo, exec_lo, s17
	s_cbranch_execnz .LBB13_160
.LBB13_161:                             ;   in Loop: Header=BB13_150 Depth=2
	s_or_b32 exec_lo, exec_lo, s55
	s_wait_storecnt 0x0
	s_barrier_signal -1
	s_barrier_wait -1
.LBB13_162:                             ;   in Loop: Header=BB13_150 Depth=2
	s_and_not1_b32 vcc_lo, exec_lo, s33
	s_cbranch_vccnz .LBB13_149
; %bb.163:                              ;   in Loop: Header=BB13_150 Depth=2
	s_and_saveexec_b32 s18, s5
	s_cbranch_execz .LBB13_148
; %bb.164:                              ;   in Loop: Header=BB13_150 Depth=2
	v_mov_b32_e32 v0, v41
	s_ashr_i32 s17, s16, 31
	s_mov_b32 s19, 0
.LBB13_165:                             ;   Parent Loop BB13_146 Depth=1
                                        ;     Parent Loop BB13_150 Depth=2
                                        ; =>    This Inner Loop Header: Depth=3
	s_delay_alu instid0(VALU_DEP_1) | instskip(SKIP_1) | instid1(VALU_DEP_1)
	v_mul_u64_e32 v[4:5], s[12:13], v[0:1]
	v_add_nc_u32_e32 v0, s46, v0
	v_cmp_le_u32_e32 vcc_lo, s27, v0
	s_or_b32 s19, vcc_lo, s19
	s_delay_alu instid0(VALU_DEP_3) | instskip(NEXT) | instid1(VALU_DEP_1)
	v_lshl_add_u64 v[4:5], v[4:5], 2, s[44:45]
	v_lshl_add_u64 v[6:7], s[16:17], 2, v[4:5]
	;; [unrolled: 1-line block ×3, first 2 shown]
	s_clause 0x1
	global_load_b32 v8, v[6:7], off
	global_load_b32 v9, v[4:5], off
	s_wait_loadcnt 0x1
	global_store_b32 v[4:5], v8, off
	s_wait_loadcnt 0x0
	global_store_b32 v[6:7], v9, off
	s_wait_xcnt 0x0
	s_and_not1_b32 exec_lo, exec_lo, s19
	s_cbranch_execnz .LBB13_165
	s_branch .LBB13_148
.LBB13_166:
	s_mov_b32 s56, exec_lo
.LBB13_167:
	s_or_b32 exec_lo, exec_lo, s20
	s_branch .LBB13_279
.LBB13_168:
	s_and_b32 vcc_lo, exec_lo, s48
	s_mov_b32 s56, -1
	s_cbranch_vccz .LBB13_279
; %bb.169:
	v_or3_b32 v0, v43, v44, v42
	s_mov_b32 s8, exec_lo
	s_wait_storecnt 0x0
	s_barrier_signal -1
	s_barrier_wait -1
	s_barrier_signal -1
	s_barrier_wait -1
	s_wait_xcnt 0x0
	v_cmpx_eq_u32_e32 0, v0
	s_cbranch_execz .LBB13_263
; %bb.170:
	s_cmp_lt_u32 s24, 0x2be
	s_cbranch_scc1 .LBB13_182
; %bb.171:
	v_mov_b32_e32 v0, 0
	s_add_nc_u64 s[4:5], s[52:53], s[50:51]
	s_mov_b64 s[2:3], 0xfffffffffffff50c
	s_add_nc_u64 s[4:5], s[4:5], 0xaf4
	s_movk_i32 s9, 0x2bd
	s_movk_i32 s10, 0x57a
	s_branch .LBB13_173
.LBB13_172:                             ;   in Loop: Header=BB13_173 Depth=1
	v_mov_b32_e32 v2, s6
	s_add_co_i32 s9, s9, 1
	s_add_co_i32 s10, s10, 1
	s_cmp_eq_u32 s9, s24
	s_add_nc_u64 s[4:5], s[4:5], 4
	global_store_b32 v2, v1, s[36:37] scale_offset
	s_cbranch_scc1 .LBB13_182
.LBB13_173:                             ; =>This Loop Header: Depth=1
                                        ;     Child Loop BB13_174 Depth 2
	s_wait_xcnt 0x0
	v_mov_b32_e32 v1, s9
	s_mov_b64 s[6:7], s[4:5]
	s_mov_b32 s11, s10
	global_load_b32 v1, v1, s[36:37] scale_offset
.LBB13_174:                             ;   Parent Loop BB13_173 Depth=1
                                        ; =>  This Inner Loop Header: Depth=2
	global_load_b32 v2, v0, s[6:7] offset:-2804
	s_mov_b32 s13, -1
	s_mov_b32 s14, -1
                                        ; implicit-def: $sgpr12
	s_wait_loadcnt 0x0
	v_cmp_nlt_f32_e32 vcc_lo, v2, v1
	s_cbranch_vccnz .LBB13_176
; %bb.175:                              ;   in Loop: Header=BB13_174 Depth=2
	s_add_co_i32 s12, s11, 0xfffffd43
	s_mov_b32 s13, 0
	s_cmp_lt_i32 s12, 0x57a
	global_store_b32 v0, v2, s[6:7]
	s_cselect_b32 s14, -1, 0
.LBB13_176:                             ;   in Loop: Header=BB13_174 Depth=2
	s_delay_alu instid0(SALU_CYCLE_1)
	s_and_not1_b32 vcc_lo, exec_lo, s14
	s_wait_xcnt 0x0
	s_add_nc_u64 s[6:7], s[6:7], s[2:3]
	s_cbranch_vccz .LBB13_178
; %bb.177:                              ;   in Loop: Header=BB13_174 Depth=2
	s_mov_b32 s11, s12
	s_branch .LBB13_174
.LBB13_178:                             ;   in Loop: Header=BB13_173 Depth=1
	s_and_not1_b32 vcc_lo, exec_lo, s13
	s_mov_b32 s7, -1
                                        ; implicit-def: $sgpr6
	s_cbranch_vccz .LBB13_180
; %bb.179:                              ;   in Loop: Header=BB13_173 Depth=1
	s_add_co_i32 s6, s12, 0xfffffd43
	s_mov_b32 s7, 0
.LBB13_180:                             ;   in Loop: Header=BB13_173 Depth=1
	s_delay_alu instid0(SALU_CYCLE_1)
	s_and_not1_b32 vcc_lo, exec_lo, s7
	s_cbranch_vccnz .LBB13_172
; %bb.181:                              ;   in Loop: Header=BB13_173 Depth=1
	s_add_co_i32 s6, s11, 0xfffffd43
	s_branch .LBB13_172
.LBB13_182:
	s_cmp_lt_i32 s24, 0x12e
	s_cbranch_scc1 .LBB13_194
; %bb.183:
	v_mov_b32_e32 v0, 0
	s_add_nc_u64 s[4:5], s[52:53], s[50:51]
	s_mov_b64 s[2:3], 0xfffffffffffffb4c
	s_add_nc_u64 s[4:5], s[4:5], 0x4b4
	s_movk_i32 s9, 0x12d
	s_movk_i32 s10, 0x25a
	s_branch .LBB13_185
.LBB13_184:                             ;   in Loop: Header=BB13_185 Depth=1
	v_mov_b32_e32 v2, s6
	s_add_co_i32 s9, s9, 1
	s_add_co_i32 s10, s10, 1
	s_cmp_lg_u32 s9, s24
	s_add_nc_u64 s[4:5], s[4:5], 4
	global_store_b32 v2, v1, s[36:37] scale_offset
	s_cbranch_scc0 .LBB13_194
.LBB13_185:                             ; =>This Loop Header: Depth=1
                                        ;     Child Loop BB13_186 Depth 2
	s_wait_xcnt 0x0
	v_mov_b32_e32 v1, s9
	s_mov_b64 s[6:7], s[4:5]
	s_mov_b32 s11, s10
	global_load_b32 v1, v1, s[36:37] scale_offset
.LBB13_186:                             ;   Parent Loop BB13_185 Depth=1
                                        ; =>  This Inner Loop Header: Depth=2
	global_load_b32 v2, v0, s[6:7] offset:-1204
	s_mov_b32 s13, -1
	s_mov_b32 s14, -1
                                        ; implicit-def: $sgpr12
	s_wait_loadcnt 0x0
	v_cmp_nlt_f32_e32 vcc_lo, v2, v1
	s_cbranch_vccnz .LBB13_188
; %bb.187:                              ;   in Loop: Header=BB13_186 Depth=2
	s_add_co_i32 s12, s11, 0xfffffed3
	s_mov_b32 s13, 0
	s_cmp_lt_i32 s12, 0x25a
	global_store_b32 v0, v2, s[6:7]
	s_cselect_b32 s14, -1, 0
.LBB13_188:                             ;   in Loop: Header=BB13_186 Depth=2
	s_delay_alu instid0(SALU_CYCLE_1)
	s_and_not1_b32 vcc_lo, exec_lo, s14
	s_wait_xcnt 0x0
	s_add_nc_u64 s[6:7], s[6:7], s[2:3]
	s_cbranch_vccz .LBB13_190
; %bb.189:                              ;   in Loop: Header=BB13_186 Depth=2
	s_mov_b32 s11, s12
	s_branch .LBB13_186
.LBB13_190:                             ;   in Loop: Header=BB13_185 Depth=1
	s_and_not1_b32 vcc_lo, exec_lo, s13
	s_mov_b32 s7, -1
                                        ; implicit-def: $sgpr6
	s_cbranch_vccz .LBB13_192
; %bb.191:                              ;   in Loop: Header=BB13_185 Depth=1
	s_add_co_i32 s6, s12, 0xfffffed3
	s_mov_b32 s7, 0
.LBB13_192:                             ;   in Loop: Header=BB13_185 Depth=1
	s_delay_alu instid0(SALU_CYCLE_1)
	s_and_not1_b32 vcc_lo, exec_lo, s7
	s_cbranch_vccnz .LBB13_184
; %bb.193:                              ;   in Loop: Header=BB13_185 Depth=1
	s_add_co_i32 s6, s11, 0xfffffed3
	s_branch .LBB13_184
.LBB13_194:
	s_cmp_lt_i32 s24, 0x85
	s_cbranch_scc1 .LBB13_206
; %bb.195:
	v_mov_b32_e32 v0, 0
	s_add_nc_u64 s[4:5], s[52:53], s[50:51]
	s_mov_b64 s[2:3], 0xfffffffffffffdf0
	s_add_nc_u64 s[4:5], s[4:5], 0x210
	s_movk_i32 s9, 0x84
	s_movk_i32 s10, 0x108
	s_branch .LBB13_197
.LBB13_196:                             ;   in Loop: Header=BB13_197 Depth=1
	v_mov_b32_e32 v2, s6
	s_add_co_i32 s9, s9, 1
	s_add_co_i32 s10, s10, 1
	s_cmp_lg_u32 s9, s24
	s_add_nc_u64 s[4:5], s[4:5], 4
	global_store_b32 v2, v1, s[36:37] scale_offset
	s_cbranch_scc0 .LBB13_206
.LBB13_197:                             ; =>This Loop Header: Depth=1
                                        ;     Child Loop BB13_198 Depth 2
	s_wait_xcnt 0x0
	v_mov_b32_e32 v1, s9
	s_mov_b64 s[6:7], s[4:5]
	s_mov_b32 s11, s10
	global_load_b32 v1, v1, s[36:37] scale_offset
.LBB13_198:                             ;   Parent Loop BB13_197 Depth=1
                                        ; =>  This Inner Loop Header: Depth=2
	global_load_b32 v2, v0, s[6:7] offset:-528
	s_mov_b32 s13, -1
	s_mov_b32 s14, -1
                                        ; implicit-def: $sgpr12
	s_wait_loadcnt 0x0
	v_cmp_nlt_f32_e32 vcc_lo, v2, v1
	s_cbranch_vccnz .LBB13_200
; %bb.199:                              ;   in Loop: Header=BB13_198 Depth=2
	s_add_co_i32 s12, s11, 0xffffff7c
	s_mov_b32 s13, 0
	s_cmp_lt_i32 s12, 0x108
	global_store_b32 v0, v2, s[6:7]
	s_cselect_b32 s14, -1, 0
.LBB13_200:                             ;   in Loop: Header=BB13_198 Depth=2
	s_delay_alu instid0(SALU_CYCLE_1)
	s_and_not1_b32 vcc_lo, exec_lo, s14
	s_wait_xcnt 0x0
	s_add_nc_u64 s[6:7], s[6:7], s[2:3]
	s_cbranch_vccz .LBB13_202
; %bb.201:                              ;   in Loop: Header=BB13_198 Depth=2
	s_mov_b32 s11, s12
	s_branch .LBB13_198
.LBB13_202:                             ;   in Loop: Header=BB13_197 Depth=1
	s_and_not1_b32 vcc_lo, exec_lo, s13
	s_mov_b32 s7, -1
                                        ; implicit-def: $sgpr6
	s_cbranch_vccz .LBB13_204
; %bb.203:                              ;   in Loop: Header=BB13_197 Depth=1
	s_add_co_i32 s6, s12, 0xffffff7c
	s_mov_b32 s7, 0
.LBB13_204:                             ;   in Loop: Header=BB13_197 Depth=1
	s_delay_alu instid0(SALU_CYCLE_1)
	s_and_not1_b32 vcc_lo, exec_lo, s7
	s_cbranch_vccnz .LBB13_196
; %bb.205:                              ;   in Loop: Header=BB13_197 Depth=1
	s_add_co_i32 s6, s11, 0xffffff7c
	s_branch .LBB13_196
.LBB13_206:
	s_cmp_lt_i32 s24, 58
	s_cbranch_scc1 .LBB13_218
; %bb.207:
	v_mov_b32_e32 v0, 0
	s_add_nc_u64 s[4:5], s[52:53], s[50:51]
	s_mov_b64 s[2:3], 0xffffffffffffff1c
	s_add_nc_u64 s[4:5], s[4:5], 0xe4
	s_mov_b32 s9, 57
	s_movk_i32 s10, 0x72
	s_branch .LBB13_209
.LBB13_208:                             ;   in Loop: Header=BB13_209 Depth=1
	v_mov_b32_e32 v2, s6
	s_add_co_i32 s9, s9, 1
	s_add_co_i32 s10, s10, 1
	s_cmp_lg_u32 s9, s24
	s_add_nc_u64 s[4:5], s[4:5], 4
	global_store_b32 v2, v1, s[36:37] scale_offset
	s_cbranch_scc0 .LBB13_218
.LBB13_209:                             ; =>This Loop Header: Depth=1
                                        ;     Child Loop BB13_210 Depth 2
	s_wait_xcnt 0x0
	v_mov_b32_e32 v1, s9
	s_mov_b64 s[6:7], s[4:5]
	s_mov_b32 s11, s10
	global_load_b32 v1, v1, s[36:37] scale_offset
.LBB13_210:                             ;   Parent Loop BB13_209 Depth=1
                                        ; =>  This Inner Loop Header: Depth=2
	global_load_b32 v2, v0, s[6:7] offset:-228
	s_mov_b32 s13, -1
	s_mov_b32 s14, -1
                                        ; implicit-def: $sgpr12
	s_wait_loadcnt 0x0
	v_cmp_nlt_f32_e32 vcc_lo, v2, v1
	s_cbranch_vccnz .LBB13_212
; %bb.211:                              ;   in Loop: Header=BB13_210 Depth=2
	s_sub_co_i32 s12, s11, 57
	s_mov_b32 s13, 0
	s_cmp_lt_i32 s12, 0x72
	global_store_b32 v0, v2, s[6:7]
	s_cselect_b32 s14, -1, 0
.LBB13_212:                             ;   in Loop: Header=BB13_210 Depth=2
	s_delay_alu instid0(SALU_CYCLE_1)
	s_and_not1_b32 vcc_lo, exec_lo, s14
	s_wait_xcnt 0x0
	s_add_nc_u64 s[6:7], s[6:7], s[2:3]
	s_cbranch_vccz .LBB13_214
; %bb.213:                              ;   in Loop: Header=BB13_210 Depth=2
	s_mov_b32 s11, s12
	s_branch .LBB13_210
.LBB13_214:                             ;   in Loop: Header=BB13_209 Depth=1
	s_and_not1_b32 vcc_lo, exec_lo, s13
	s_mov_b32 s7, -1
                                        ; implicit-def: $sgpr6
	s_cbranch_vccz .LBB13_216
; %bb.215:                              ;   in Loop: Header=BB13_209 Depth=1
	s_sub_co_i32 s6, s12, 57
	s_mov_b32 s7, 0
.LBB13_216:                             ;   in Loop: Header=BB13_209 Depth=1
	s_delay_alu instid0(SALU_CYCLE_1)
	s_and_not1_b32 vcc_lo, exec_lo, s7
	s_cbranch_vccnz .LBB13_208
; %bb.217:                              ;   in Loop: Header=BB13_209 Depth=1
	s_sub_co_i32 s6, s11, 57
	s_branch .LBB13_208
.LBB13_218:
	s_cmp_lt_i32 s24, 24
	s_cbranch_scc1 .LBB13_230
; %bb.219:
	v_mov_b32_e32 v0, 0
	s_add_nc_u64 s[4:5], s[52:53], s[50:51]
	s_mov_b64 s[2:3], 0xffffffffffffffa4
	s_add_nc_u64 s[4:5], s[4:5], 0x5c
	s_mov_b32 s9, 23
	s_mov_b32 s10, 46
	s_branch .LBB13_221
.LBB13_220:                             ;   in Loop: Header=BB13_221 Depth=1
	v_mov_b32_e32 v2, s6
	s_add_co_i32 s9, s9, 1
	s_add_co_i32 s10, s10, 1
	s_cmp_lg_u32 s9, s24
	s_add_nc_u64 s[4:5], s[4:5], 4
	global_store_b32 v2, v1, s[36:37] scale_offset
	s_cbranch_scc0 .LBB13_230
.LBB13_221:                             ; =>This Loop Header: Depth=1
                                        ;     Child Loop BB13_222 Depth 2
	s_wait_xcnt 0x0
	v_mov_b32_e32 v1, s9
	s_mov_b64 s[6:7], s[4:5]
	s_mov_b32 s11, s10
	global_load_b32 v1, v1, s[36:37] scale_offset
.LBB13_222:                             ;   Parent Loop BB13_221 Depth=1
                                        ; =>  This Inner Loop Header: Depth=2
	global_load_b32 v2, v0, s[6:7] offset:-92
	s_mov_b32 s13, -1
	s_mov_b32 s14, -1
                                        ; implicit-def: $sgpr12
	s_wait_loadcnt 0x0
	v_cmp_nlt_f32_e32 vcc_lo, v2, v1
	s_cbranch_vccnz .LBB13_224
; %bb.223:                              ;   in Loop: Header=BB13_222 Depth=2
	s_sub_co_i32 s12, s11, 23
	s_mov_b32 s13, 0
	s_cmp_lt_i32 s12, 46
	global_store_b32 v0, v2, s[6:7]
	s_cselect_b32 s14, -1, 0
.LBB13_224:                             ;   in Loop: Header=BB13_222 Depth=2
	s_delay_alu instid0(SALU_CYCLE_1)
	s_and_not1_b32 vcc_lo, exec_lo, s14
	s_wait_xcnt 0x0
	s_add_nc_u64 s[6:7], s[6:7], s[2:3]
	s_cbranch_vccz .LBB13_226
; %bb.225:                              ;   in Loop: Header=BB13_222 Depth=2
	s_mov_b32 s11, s12
	s_branch .LBB13_222
.LBB13_226:                             ;   in Loop: Header=BB13_221 Depth=1
	s_and_not1_b32 vcc_lo, exec_lo, s13
	s_mov_b32 s7, -1
                                        ; implicit-def: $sgpr6
	s_cbranch_vccz .LBB13_228
; %bb.227:                              ;   in Loop: Header=BB13_221 Depth=1
	s_sub_co_i32 s6, s12, 23
	s_mov_b32 s7, 0
.LBB13_228:                             ;   in Loop: Header=BB13_221 Depth=1
	s_delay_alu instid0(SALU_CYCLE_1)
	s_and_not1_b32 vcc_lo, exec_lo, s7
	s_cbranch_vccnz .LBB13_220
; %bb.229:                              ;   in Loop: Header=BB13_221 Depth=1
	s_sub_co_i32 s6, s11, 23
	s_branch .LBB13_220
.LBB13_230:
	s_cmp_lt_i32 s24, 11
	s_cbranch_scc1 .LBB13_242
; %bb.231:
	v_mov_b32_e32 v0, 0
	s_add_nc_u64 s[4:5], s[52:53], s[50:51]
	s_mov_b64 s[2:3], 0xffffffffffffffd8
	s_add_nc_u64 s[4:5], s[4:5], 40
	s_mov_b32 s9, 10
	s_mov_b32 s10, 20
	s_branch .LBB13_233
.LBB13_232:                             ;   in Loop: Header=BB13_233 Depth=1
	v_mov_b32_e32 v2, s6
	s_add_co_i32 s9, s9, 1
	s_add_co_i32 s10, s10, 1
	s_cmp_lg_u32 s9, s24
	s_add_nc_u64 s[4:5], s[4:5], 4
	global_store_b32 v2, v1, s[36:37] scale_offset
	s_cbranch_scc0 .LBB13_242
.LBB13_233:                             ; =>This Loop Header: Depth=1
                                        ;     Child Loop BB13_234 Depth 2
	s_wait_xcnt 0x0
	v_mov_b32_e32 v1, s9
	s_mov_b64 s[6:7], s[4:5]
	s_mov_b32 s11, s10
	global_load_b32 v1, v1, s[36:37] scale_offset
.LBB13_234:                             ;   Parent Loop BB13_233 Depth=1
                                        ; =>  This Inner Loop Header: Depth=2
	global_load_b32 v2, v0, s[6:7] offset:-40
	s_mov_b32 s13, -1
	s_mov_b32 s14, -1
                                        ; implicit-def: $sgpr12
	s_wait_loadcnt 0x0
	v_cmp_nlt_f32_e32 vcc_lo, v2, v1
	s_cbranch_vccnz .LBB13_236
; %bb.235:                              ;   in Loop: Header=BB13_234 Depth=2
	s_add_co_i32 s12, s11, -10
	s_mov_b32 s13, 0
	s_cmp_lt_i32 s12, 20
	global_store_b32 v0, v2, s[6:7]
	s_cselect_b32 s14, -1, 0
.LBB13_236:                             ;   in Loop: Header=BB13_234 Depth=2
	s_delay_alu instid0(SALU_CYCLE_1)
	s_and_not1_b32 vcc_lo, exec_lo, s14
	s_wait_xcnt 0x0
	s_add_nc_u64 s[6:7], s[6:7], s[2:3]
	s_cbranch_vccz .LBB13_238
; %bb.237:                              ;   in Loop: Header=BB13_234 Depth=2
	s_mov_b32 s11, s12
	s_branch .LBB13_234
.LBB13_238:                             ;   in Loop: Header=BB13_233 Depth=1
	s_and_not1_b32 vcc_lo, exec_lo, s13
	s_mov_b32 s7, -1
                                        ; implicit-def: $sgpr6
	s_cbranch_vccz .LBB13_240
; %bb.239:                              ;   in Loop: Header=BB13_233 Depth=1
	s_add_co_i32 s6, s12, -10
	s_mov_b32 s7, 0
.LBB13_240:                             ;   in Loop: Header=BB13_233 Depth=1
	s_delay_alu instid0(SALU_CYCLE_1)
	s_and_not1_b32 vcc_lo, exec_lo, s7
	s_cbranch_vccnz .LBB13_232
; %bb.241:                              ;   in Loop: Header=BB13_233 Depth=1
	s_add_co_i32 s6, s11, -10
	s_branch .LBB13_232
.LBB13_242:
	s_cmp_lt_i32 s24, 5
	s_cbranch_scc1 .LBB13_254
; %bb.243:
	v_mov_b32_e32 v0, 0
	s_add_nc_u64 s[2:3], s[52:53], s[50:51]
	s_mov_b32 s6, 4
	s_add_nc_u64 s[2:3], s[2:3], 16
	s_mov_b32 s7, 8
	s_branch .LBB13_245
.LBB13_244:                             ;   in Loop: Header=BB13_245 Depth=1
	v_mov_b32_e32 v2, s4
	s_add_co_i32 s6, s6, 1
	s_add_co_i32 s7, s7, 1
	s_cmp_lg_u32 s6, s24
	s_add_nc_u64 s[2:3], s[2:3], 4
	global_store_b32 v2, v1, s[36:37] scale_offset
	s_cbranch_scc0 .LBB13_254
.LBB13_245:                             ; =>This Loop Header: Depth=1
                                        ;     Child Loop BB13_246 Depth 2
	s_wait_xcnt 0x0
	v_mov_b32_e32 v1, s6
	s_mov_b64 s[4:5], s[2:3]
	s_mov_b32 s9, s7
	global_load_b32 v1, v1, s[36:37] scale_offset
.LBB13_246:                             ;   Parent Loop BB13_245 Depth=1
                                        ; =>  This Inner Loop Header: Depth=2
	global_load_b32 v2, v0, s[4:5] offset:-16
	s_mov_b32 s11, -1
	s_mov_b32 s12, -1
                                        ; implicit-def: $sgpr10
	s_wait_loadcnt 0x0
	v_cmp_nlt_f32_e32 vcc_lo, v2, v1
	s_cbranch_vccnz .LBB13_248
; %bb.247:                              ;   in Loop: Header=BB13_246 Depth=2
	s_add_co_i32 s10, s9, -4
	s_mov_b32 s11, 0
	s_cmp_lt_i32 s10, 8
	global_store_b32 v0, v2, s[4:5]
	s_cselect_b32 s12, -1, 0
.LBB13_248:                             ;   in Loop: Header=BB13_246 Depth=2
	s_delay_alu instid0(SALU_CYCLE_1)
	s_and_not1_b32 vcc_lo, exec_lo, s12
	s_wait_xcnt 0x0
	s_add_nc_u64 s[4:5], s[4:5], -16
	s_cbranch_vccz .LBB13_250
; %bb.249:                              ;   in Loop: Header=BB13_246 Depth=2
	s_mov_b32 s9, s10
	s_branch .LBB13_246
.LBB13_250:                             ;   in Loop: Header=BB13_245 Depth=1
	s_and_not1_b32 vcc_lo, exec_lo, s11
	s_mov_b32 s5, -1
                                        ; implicit-def: $sgpr4
	s_cbranch_vccz .LBB13_252
; %bb.251:                              ;   in Loop: Header=BB13_245 Depth=1
	s_add_co_i32 s4, s10, -4
	s_mov_b32 s5, 0
.LBB13_252:                             ;   in Loop: Header=BB13_245 Depth=1
	s_delay_alu instid0(SALU_CYCLE_1)
	s_and_not1_b32 vcc_lo, exec_lo, s5
	s_cbranch_vccnz .LBB13_244
; %bb.253:                              ;   in Loop: Header=BB13_245 Depth=1
	s_add_co_i32 s4, s9, -4
	s_branch .LBB13_244
.LBB13_254:
	s_cmp_lt_i32 s24, 2
	s_mov_b32 s6, 2
	s_cbranch_scc1 .LBB13_263
; %bb.255:
	v_mov_b32_e32 v0, 0
	s_add_nc_u64 s[2:3], s[52:53], s[50:51]
	s_mov_b32 s7, 1
	s_add_nc_u64 s[2:3], s[2:3], 4
	s_branch .LBB13_257
.LBB13_256:                             ;   in Loop: Header=BB13_257 Depth=1
	v_mov_b32_e32 v2, s4
	s_add_co_i32 s7, s7, 1
	s_add_co_i32 s6, s6, 1
	s_cmp_eq_u32 s7, s24
	s_add_nc_u64 s[2:3], s[2:3], 4
	global_store_b32 v2, v1, s[36:37] scale_offset
	s_cbranch_scc1 .LBB13_263
.LBB13_257:                             ; =>This Loop Header: Depth=1
                                        ;     Child Loop BB13_259 Depth 2
	s_wait_xcnt 0x0
	v_mov_b32_e32 v1, s7
	s_mov_b64 s[4:5], s[2:3]
	s_mov_b32 s10, s6
	global_load_b32 v1, v1, s[36:37] scale_offset
	s_branch .LBB13_259
.LBB13_258:                             ;   in Loop: Header=BB13_259 Depth=2
	s_and_not1_b32 vcc_lo, exec_lo, s12
	s_wait_xcnt 0x0
	s_add_nc_u64 s[4:5], s[4:5], -4
	s_cbranch_vccz .LBB13_261
.LBB13_259:                             ;   Parent Loop BB13_257 Depth=1
                                        ; =>  This Inner Loop Header: Depth=2
	global_load_b32 v2, v0, s[4:5] offset:-4
	s_mov_b32 s9, s10
	s_mov_b32 s11, -1
	s_mov_b32 s12, -1
                                        ; implicit-def: $sgpr10
	s_wait_loadcnt 0x0
	v_cmp_nlt_f32_e32 vcc_lo, v2, v1
	s_cbranch_vccnz .LBB13_258
; %bb.260:                              ;   in Loop: Header=BB13_259 Depth=2
	s_add_co_i32 s10, s9, -1
	s_mov_b32 s11, 0
	s_cmp_lt_i32 s10, 2
	global_store_b32 v0, v2, s[4:5]
	s_cselect_b32 s12, -1, 0
	s_branch .LBB13_258
.LBB13_261:                             ;   in Loop: Header=BB13_257 Depth=1
	s_and_b32 vcc_lo, exec_lo, s11
	s_mov_b32 s4, 0
	s_cbranch_vccz .LBB13_256
; %bb.262:                              ;   in Loop: Header=BB13_257 Depth=1
	s_add_co_i32 s4, s9, -1
	s_branch .LBB13_256
.LBB13_263:
	s_wait_xcnt 0x0
	s_or_b32 exec_lo, exec_lo, s8
	s_cmp_lt_i32 s24, 2
	s_mov_b32 s56, 0
	s_cselect_b32 s5, -1, 0
	s_wait_storecnt 0x0
	s_and_b32 vcc_lo, exec_lo, s5
	s_barrier_signal -1
	s_barrier_wait -1
	s_cbranch_vccnz .LBB13_271
; %bb.264:
	s_add_co_i32 s4, s24, -1
	s_mov_b32 s5, -1
	s_mov_b32 s2, 0
	s_mov_b32 s3, exec_lo
	v_cmpx_gt_u32_e64 s4, v41
	s_cbranch_execz .LBB13_273
; %bb.265:
	v_dual_mov_b32 v1, 0 :: v_dual_mov_b32 v0, v41
	s_mov_b32 s5, 0
                                        ; implicit-def: $sgpr6
	s_branch .LBB13_267
.LBB13_266:                             ;   in Loop: Header=BB13_267 Depth=1
	s_or_b32 exec_lo, exec_lo, s9
	s_xor_b32 s7, s8, -1
	s_and_b32 s2, exec_lo, s2
	s_delay_alu instid0(SALU_CYCLE_1) | instskip(SKIP_2) | instid1(SALU_CYCLE_1)
	s_or_b32 s5, s2, s5
	s_and_not1_b32 s2, s6, exec_lo
	s_and_b32 s6, s7, exec_lo
	s_or_b32 s6, s2, s6
	s_and_not1_b32 exec_lo, exec_lo, s5
	s_cbranch_execz .LBB13_272
.LBB13_267:                             ; =>This Inner Loop Header: Depth=1
	global_load_b32 v2, v0, s[36:37] scale_offset
	s_mov_b32 s8, exec_lo
	s_wait_loadcnt 0x0
	v_cmp_u_f32_e64 s7, v2, v2
	v_cmpx_o_f32_e32 v2, v2
	s_cbranch_execz .LBB13_269
; %bb.268:                              ;   in Loop: Header=BB13_267 Depth=1
	v_lshl_add_u64 v[4:5], v[0:1], 2, s[36:37]
	s_and_not1_b32 s7, s7, exec_lo
	global_load_b32 v3, v[4:5], off offset:4
	s_wait_loadcnt 0x0
	v_cmp_u_f32_e32 vcc_lo, v3, v3
	v_cmp_ge_f32_e64 s2, v2, v3
	s_or_b32 s2, vcc_lo, s2
	s_delay_alu instid0(SALU_CYCLE_1) | instskip(NEXT) | instid1(SALU_CYCLE_1)
	s_and_b32 s2, s2, exec_lo
	s_or_b32 s7, s7, s2
.LBB13_269:                             ;   in Loop: Header=BB13_267 Depth=1
	s_or_b32 exec_lo, exec_lo, s8
	s_mov_b32 s2, -1
	s_mov_b32 s8, -1
	s_and_saveexec_b32 s9, s7
	s_cbranch_execz .LBB13_266
; %bb.270:                              ;   in Loop: Header=BB13_267 Depth=1
	v_add_nc_u32_e32 v0, s46, v0
	s_xor_b32 s8, exec_lo, -1
	s_delay_alu instid0(VALU_DEP_1)
	v_cmp_le_u32_e32 vcc_lo, s4, v0
	s_or_not1_b32 s2, vcc_lo, exec_lo
	s_branch .LBB13_266
.LBB13_271:
	s_mov_b32 s2, 0
	s_branch .LBB13_274
.LBB13_272:
	s_or_b32 exec_lo, exec_lo, s5
	s_delay_alu instid0(SALU_CYCLE_1)
	s_mov_b32 s2, exec_lo
	s_or_not1_b32 s5, s6, exec_lo
.LBB13_273:
	s_or_b32 exec_lo, exec_lo, s3
.LBB13_274:
	s_and_saveexec_b32 s3, s5
	s_cbranch_execz .LBB13_276
; %bb.275:
	s_mov_b32 s56, exec_lo
	s_barrier_signal -1
	s_barrier_wait -1
	s_and_not1_b32 s2, s2, exec_lo
.LBB13_276:
	s_or_b32 exec_lo, exec_lo, s3
	s_and_saveexec_b32 s40, s2
	s_cbranch_execz .LBB13_278
; %bb.277:
	s_get_pc_i64 s[2:3]
	s_add_nc_u64 s[2:3], s[2:3], __PRETTY_FUNCTION__._ZN9rocsolver6v33100L21shell_sort_descendingIfiEEvT0_PT_PS2_@rel64+4
	s_add_nc_u64 s[8:9], s[0:1], 0x90
	v_dual_mov_b32 v0, s2 :: v_dual_mov_b32 v1, s3
	s_get_pc_i64 s[0:1]
	s_add_nc_u64 s[0:1], s[0:1], __assert_fail@rel64+4
	s_delay_alu instid0(SALU_CYCLE_1)
	s_swap_pc_i64 s[30:31], s[0:1]
	s_or_b32 s54, s54, exec_lo
.LBB13_278:
	s_or_b32 exec_lo, exec_lo, s40
.LBB13_279:
	s_wait_xcnt 0x0
	s_and_saveexec_b32 s0, s54
; %bb.280:
	; divergent unreachable
; %bb.281:
	s_delay_alu instid0(SALU_CYCLE_1)
	s_or_b32 exec_lo, exec_lo, s0
	s_and_saveexec_b32 s0, s56
	s_cbranch_execz .LBB13_283
; %bb.282:
	s_wait_storecnt 0x0
	s_barrier_signal -1
	s_barrier_wait -1
.LBB13_283:
	s_or_b32 exec_lo, exec_lo, s0
	s_cbranch_execnz .LBB13_307
.LBB13_284:
	s_cmp_lt_i32 s24, 2
	s_cbranch_scc1 .LBB13_307
; %bb.285:
	v_mul_lo_u32 v0, s47, v41
	s_wait_xcnt 0x0
	v_mul_lo_u32 v1, s49, v41
	s_cmp_lg_u32 s25, 0
	v_cmp_eq_u32_e64 s0, 0, v41
	s_cselect_b32 s12, -1, 0
	s_cmp_lg_u32 s26, 0
	v_cmp_gt_i32_e64 s1, s25, v41
	v_cmp_gt_i32_e64 s2, s26, v41
	;; [unrolled: 1-line block ×3, first 2 shown]
	v_mov_b32_e32 v2, 0
	s_cselect_b32 s13, -1, 0
	s_cmp_lg_u32 s27, 0
	s_add_nc_u64 s[6:7], s[52:53], s[50:51]
	s_mov_b32 s5, 0
	s_cselect_b32 s14, -1, 0
	s_add_co_i32 s15, s24, -2
	s_add_nc_u64 s[6:7], s[6:7], 4
	s_mul_i32 s16, s47, s21
	s_mul_i32 s17, s49, s21
	s_mov_b32 s18, 0
	s_mov_b32 s19, 0
	s_branch .LBB13_288
.LBB13_286:                             ;   in Loop: Header=BB13_288 Depth=1
	s_or_b32 exec_lo, exec_lo, s8
	s_wait_storecnt 0x0
	s_barrier_signal -1
	s_barrier_wait -1
.LBB13_287:                             ;   in Loop: Header=BB13_288 Depth=1
	s_add_co_i32 s18, s18, s43
	s_cmp_eq_u32 s4, s15
	s_add_nc_u64 s[6:7], s[6:7], 4
	s_cbranch_scc1 .LBB13_307
.LBB13_288:                             ; =>This Loop Header: Depth=1
                                        ;     Child Loop BB13_289 Depth 2
                                        ;     Child Loop BB13_296 Depth 2
	;; [unrolled: 1-line block ×4, first 2 shown]
	v_mov_b32_e32 v3, s19
	s_mov_b32 s4, s19
	s_add_co_i32 s19, s19, 1
	s_lshl_b64 s[8:9], s[4:5], 2
	s_mov_b64 s[10:11], s[6:7]
	global_load_b32 v4, v3, s[36:37] scale_offset
	s_add_nc_u64 s[8:9], s[36:37], s[8:9]
	s_mov_b32 s20, s19
.LBB13_289:                             ;   Parent Loop BB13_288 Depth=1
                                        ; =>  This Inner Loop Header: Depth=2
	global_load_b32 v5, v2, s[10:11]
	s_wait_xcnt 0x0
	s_add_nc_u64 s[10:11], s[10:11], 4
	s_wait_loadcnt 0x0
	v_cmp_gt_f32_e32 vcc_lo, v5, v4
	v_cndmask_b32_e64 v3, v3, s20, vcc_lo
	v_cndmask_b32_e32 v4, v4, v5, vcc_lo
	s_add_co_i32 s20, s20, 1
	s_delay_alu instid0(SALU_CYCLE_1)
	s_cmp_lg_u32 s24, s20
	s_cbranch_scc1 .LBB13_289
; %bb.290:                              ;   in Loop: Header=BB13_288 Depth=1
	v_cmp_eq_u32_e32 vcc_lo, s4, v3
	s_wait_storecnt 0x0
	s_barrier_signal -1
	s_barrier_wait -1
	s_cbranch_vccnz .LBB13_287
; %bb.291:                              ;   in Loop: Header=BB13_288 Depth=1
	s_and_saveexec_b32 s10, s0
	s_cbranch_execz .LBB13_293
; %bb.292:                              ;   in Loop: Header=BB13_288 Depth=1
	global_load_b32 v5, v2, s[8:9]
	s_wait_loadcnt 0x0
	s_clause 0x1
	global_store_b32 v3, v5, s[36:37] scale_offset
	global_store_b32 v2, v4, s[8:9]
.LBB13_293:                             ;   in Loop: Header=BB13_288 Depth=1
	s_wait_xcnt 0x0
	s_or_b32 exec_lo, exec_lo, s10
	s_delay_alu instid0(SALU_CYCLE_1)
	s_and_not1_b32 vcc_lo, exec_lo, s12
	s_cbranch_vccnz .LBB13_298
; %bb.294:                              ;   in Loop: Header=BB13_288 Depth=1
	s_and_saveexec_b32 s8, s1
	s_cbranch_execz .LBB13_297
; %bb.295:                              ;   in Loop: Header=BB13_288 Depth=1
	v_dual_mov_b32 v4, v0 :: v_dual_mov_b32 v5, v41
	s_mov_b32 s9, 0
.LBB13_296:                             ;   Parent Loop BB13_288 Depth=1
                                        ; =>  This Inner Loop Header: Depth=2
	s_delay_alu instid0(VALU_DEP_1) | instskip(NEXT) | instid1(VALU_DEP_2)
	v_dual_add_nc_u32 v6, s4, v4 :: v_dual_add_nc_u32 v7, v3, v4
	v_dual_add_nc_u32 v5, s21, v5 :: v_dual_add_nc_u32 v4, s16, v4
	s_clause 0x1
	global_load_b32 v8, v6, s[34:35] scale_offset
	global_load_b32 v9, v7, s[34:35] scale_offset
	s_wait_loadcnt 0x1
	global_store_b32 v7, v8, s[34:35] scale_offset
	s_wait_loadcnt 0x0
	global_store_b32 v6, v9, s[34:35] scale_offset
	v_cmp_le_i32_e32 vcc_lo, s25, v5
	s_or_b32 s9, vcc_lo, s9
	s_wait_xcnt 0x0
	s_and_not1_b32 exec_lo, exec_lo, s9
	s_cbranch_execnz .LBB13_296
.LBB13_297:                             ;   in Loop: Header=BB13_288 Depth=1
	s_or_b32 exec_lo, exec_lo, s8
	s_wait_storecnt 0x0
	s_barrier_signal -1
	s_barrier_wait -1
.LBB13_298:                             ;   in Loop: Header=BB13_288 Depth=1
	s_and_not1_b32 vcc_lo, exec_lo, s13
	s_cbranch_vccnz .LBB13_303
; %bb.299:                              ;   in Loop: Header=BB13_288 Depth=1
	s_and_saveexec_b32 s8, s2
	s_cbranch_execz .LBB13_302
; %bb.300:                              ;   in Loop: Header=BB13_288 Depth=1
	v_mul_lo_u32 v4, v3, s43
	v_mov_b32_e32 v5, v41
	s_mov_b32 s9, 0
.LBB13_301:                             ;   Parent Loop BB13_288 Depth=1
                                        ; =>  This Inner Loop Header: Depth=2
	s_delay_alu instid0(VALU_DEP_1)
	v_dual_add_nc_u32 v6, s18, v5 :: v_dual_add_nc_u32 v7, v4, v5
	v_add_nc_u32_e32 v5, s21, v5
	s_clause 0x1
	global_load_b32 v8, v6, s[28:29] scale_offset
	global_load_b32 v9, v7, s[28:29] scale_offset
	s_wait_loadcnt 0x1
	global_store_b32 v7, v8, s[28:29] scale_offset
	s_wait_loadcnt 0x0
	global_store_b32 v6, v9, s[28:29] scale_offset
	v_cmp_le_i32_e32 vcc_lo, s26, v5
	s_or_b32 s9, vcc_lo, s9
	s_wait_xcnt 0x0
	s_and_not1_b32 exec_lo, exec_lo, s9
	s_cbranch_execnz .LBB13_301
.LBB13_302:                             ;   in Loop: Header=BB13_288 Depth=1
	s_or_b32 exec_lo, exec_lo, s8
	s_wait_storecnt 0x0
	s_barrier_signal -1
	s_barrier_wait -1
.LBB13_303:                             ;   in Loop: Header=BB13_288 Depth=1
	s_and_not1_b32 vcc_lo, exec_lo, s14
	s_cbranch_vccnz .LBB13_287
; %bb.304:                              ;   in Loop: Header=BB13_288 Depth=1
	s_and_saveexec_b32 s8, s3
	s_cbranch_execz .LBB13_286
; %bb.305:                              ;   in Loop: Header=BB13_288 Depth=1
	v_dual_mov_b32 v4, v1 :: v_dual_mov_b32 v5, v41
	s_mov_b32 s9, 0
.LBB13_306:                             ;   Parent Loop BB13_288 Depth=1
                                        ; =>  This Inner Loop Header: Depth=2
	s_delay_alu instid0(VALU_DEP_1) | instskip(NEXT) | instid1(VALU_DEP_2)
	v_dual_add_nc_u32 v6, s4, v4 :: v_dual_add_nc_u32 v7, v3, v4
	v_dual_add_nc_u32 v5, s21, v5 :: v_dual_add_nc_u32 v4, s17, v4
	s_clause 0x1
	global_load_b32 v8, v6, s[44:45] scale_offset
	global_load_b32 v9, v7, s[44:45] scale_offset
	s_wait_loadcnt 0x1
	global_store_b32 v7, v8, s[44:45] scale_offset
	s_wait_loadcnt 0x0
	global_store_b32 v6, v9, s[44:45] scale_offset
	v_cmp_le_i32_e32 vcc_lo, s27, v5
	s_or_b32 s9, vcc_lo, s9
	s_wait_xcnt 0x0
	s_and_not1_b32 exec_lo, exec_lo, s9
	s_cbranch_execnz .LBB13_306
	s_branch .LBB13_286
.LBB13_307:
	s_mov_b32 s2, 0
.LBB13_308:
	s_delay_alu instid0(SALU_CYCLE_1)
	s_and_not1_b32 vcc_lo, exec_lo, s2
	s_cbranch_vccnz .LBB13_311
; %bb.309:
	s_mov_b32 s0, exec_lo
	s_wait_xcnt 0x0
	v_cmpx_eq_u32_e32 0, v41
	s_cbranch_execz .LBB13_311
; %bb.310:
	v_dual_mov_b32 v0, 0 :: v_dual_mov_b32 v1, s42
	s_add_nc_u64 s[0:1], s[38:39], s[22:23]
	global_store_b32 v0, v1, s[0:1]
.LBB13_311:
	s_endpgm
	.section	.rodata,"a",@progbits
	.p2align	6, 0x0
	.amdhsa_kernel _ZN9rocsolver6v33100L14bdsqr_finalizeIffPfS2_S2_EEviiiiPT0_lS4_lT1_iilT2_iilT3_iilPiS8_S8_
		.amdhsa_group_segment_fixed_size 0
		.amdhsa_private_segment_fixed_size 64
		.amdhsa_kernarg_size 400
		.amdhsa_user_sgpr_count 2
		.amdhsa_user_sgpr_dispatch_ptr 0
		.amdhsa_user_sgpr_queue_ptr 0
		.amdhsa_user_sgpr_kernarg_segment_ptr 1
		.amdhsa_user_sgpr_dispatch_id 0
		.amdhsa_user_sgpr_kernarg_preload_length 0
		.amdhsa_user_sgpr_kernarg_preload_offset 0
		.amdhsa_user_sgpr_private_segment_size 0
		.amdhsa_wavefront_size32 1
		.amdhsa_uses_dynamic_stack 0
		.amdhsa_enable_private_segment 1
		.amdhsa_system_sgpr_workgroup_id_x 1
		.amdhsa_system_sgpr_workgroup_id_y 1
		.amdhsa_system_sgpr_workgroup_id_z 0
		.amdhsa_system_sgpr_workgroup_info 0
		.amdhsa_system_vgpr_workitem_id 2
		.amdhsa_next_free_vgpr 49
		.amdhsa_next_free_sgpr 60
		.amdhsa_named_barrier_count 0
		.amdhsa_reserve_vcc 1
		.amdhsa_float_round_mode_32 0
		.amdhsa_float_round_mode_16_64 0
		.amdhsa_float_denorm_mode_32 3
		.amdhsa_float_denorm_mode_16_64 3
		.amdhsa_fp16_overflow 0
		.amdhsa_memory_ordered 1
		.amdhsa_forward_progress 1
		.amdhsa_inst_pref_size 63
		.amdhsa_round_robin_scheduling 0
		.amdhsa_exception_fp_ieee_invalid_op 0
		.amdhsa_exception_fp_denorm_src 0
		.amdhsa_exception_fp_ieee_div_zero 0
		.amdhsa_exception_fp_ieee_overflow 0
		.amdhsa_exception_fp_ieee_underflow 0
		.amdhsa_exception_fp_ieee_inexact 0
		.amdhsa_exception_int_div_zero 0
	.end_amdhsa_kernel
	.section	.text._ZN9rocsolver6v33100L14bdsqr_finalizeIffPfS2_S2_EEviiiiPT0_lS4_lT1_iilT2_iilT3_iilPiS8_S8_,"axG",@progbits,_ZN9rocsolver6v33100L14bdsqr_finalizeIffPfS2_S2_EEviiiiPT0_lS4_lT1_iilT2_iilT3_iilPiS8_S8_,comdat
.Lfunc_end13:
	.size	_ZN9rocsolver6v33100L14bdsqr_finalizeIffPfS2_S2_EEviiiiPT0_lS4_lT1_iilT2_iilT3_iilPiS8_S8_, .Lfunc_end13-_ZN9rocsolver6v33100L14bdsqr_finalizeIffPfS2_S2_EEviiiiPT0_lS4_lT1_iilT2_iilT3_iilPiS8_S8_
                                        ; -- End function
	.set _ZN9rocsolver6v33100L14bdsqr_finalizeIffPfS2_S2_EEviiiiPT0_lS4_lT1_iilT2_iilT3_iilPiS8_S8_.num_vgpr, max(45, .L__assert_fail.num_vgpr)
	.set _ZN9rocsolver6v33100L14bdsqr_finalizeIffPfS2_S2_EEviiiiPT0_lS4_lT1_iilT2_iilT3_iilPiS8_S8_.num_agpr, max(0, .L__assert_fail.num_agpr)
	.set _ZN9rocsolver6v33100L14bdsqr_finalizeIffPfS2_S2_EEviiiiPT0_lS4_lT1_iilT2_iilT3_iilPiS8_S8_.numbered_sgpr, max(60, .L__assert_fail.numbered_sgpr)
	.set _ZN9rocsolver6v33100L14bdsqr_finalizeIffPfS2_S2_EEviiiiPT0_lS4_lT1_iilT2_iilT3_iilPiS8_S8_.num_named_barrier, max(0, .L__assert_fail.num_named_barrier)
	.set _ZN9rocsolver6v33100L14bdsqr_finalizeIffPfS2_S2_EEviiiiPT0_lS4_lT1_iilT2_iilT3_iilPiS8_S8_.private_seg_size, 0+max(.L__assert_fail.private_seg_size)
	.set _ZN9rocsolver6v33100L14bdsqr_finalizeIffPfS2_S2_EEviiiiPT0_lS4_lT1_iilT2_iilT3_iilPiS8_S8_.uses_vcc, or(1, .L__assert_fail.uses_vcc)
	.set _ZN9rocsolver6v33100L14bdsqr_finalizeIffPfS2_S2_EEviiiiPT0_lS4_lT1_iilT2_iilT3_iilPiS8_S8_.uses_flat_scratch, or(0, .L__assert_fail.uses_flat_scratch)
	.set _ZN9rocsolver6v33100L14bdsqr_finalizeIffPfS2_S2_EEviiiiPT0_lS4_lT1_iilT2_iilT3_iilPiS8_S8_.has_dyn_sized_stack, or(0, .L__assert_fail.has_dyn_sized_stack)
	.set _ZN9rocsolver6v33100L14bdsqr_finalizeIffPfS2_S2_EEviiiiPT0_lS4_lT1_iilT2_iilT3_iilPiS8_S8_.has_recursion, or(0, .L__assert_fail.has_recursion)
	.set _ZN9rocsolver6v33100L14bdsqr_finalizeIffPfS2_S2_EEviiiiPT0_lS4_lT1_iilT2_iilT3_iilPiS8_S8_.has_indirect_call, or(0, .L__assert_fail.has_indirect_call)
	.section	.AMDGPU.csdata,"",@progbits
; Kernel info:
; codeLenInByte = 8044
; TotalNumSgprs: 62
; NumVgprs: 49
; ScratchSize: 64
; MemoryBound: 0
; FloatMode: 240
; IeeeMode: 1
; LDSByteSize: 0 bytes/workgroup (compile time only)
; SGPRBlocks: 0
; VGPRBlocks: 3
; NumSGPRsForWavesPerEU: 62
; NumVGPRsForWavesPerEU: 49
; NamedBarCnt: 0
; Occupancy: 16
; WaveLimiterHint : 1
; COMPUTE_PGM_RSRC2:SCRATCH_EN: 1
; COMPUTE_PGM_RSRC2:USER_SGPR: 2
; COMPUTE_PGM_RSRC2:TRAP_HANDLER: 0
; COMPUTE_PGM_RSRC2:TGID_X_EN: 1
; COMPUTE_PGM_RSRC2:TGID_Y_EN: 1
; COMPUTE_PGM_RSRC2:TGID_Z_EN: 0
; COMPUTE_PGM_RSRC2:TIDIG_COMP_CNT: 2
	.section	.text._ZN9rocsolver6v33100L10bdsqr_initIddEEviPT0_lS3_lPiiS2_S2_S4_S3_lS4_,"axG",@progbits,_ZN9rocsolver6v33100L10bdsqr_initIddEEviPT0_lS3_lPiiS2_S2_S4_S3_lS4_,comdat
	.globl	_ZN9rocsolver6v33100L10bdsqr_initIddEEviPT0_lS3_lPiiS2_S2_S4_S3_lS4_ ; -- Begin function _ZN9rocsolver6v33100L10bdsqr_initIddEEviPT0_lS3_lPiiS2_S2_S4_S3_lS4_
	.p2align	8
	.type	_ZN9rocsolver6v33100L10bdsqr_initIddEEviPT0_lS3_lPiiS2_S2_S4_S3_lS4_,@function
_ZN9rocsolver6v33100L10bdsqr_initIddEEviPT0_lS3_lPiiS2_S2_S4_S3_lS4_: ; @_ZN9rocsolver6v33100L10bdsqr_initIddEEviPT0_lS3_lPiiS2_S2_S4_S3_lS4_
; %bb.0:
	s_clause 0x1
	s_load_b32 s2, s[0:1], 0x0
	s_load_b256 s[4:11], s[0:1], 0x8
	s_bfe_u32 s3, ttmp6, 0x40010
	s_bfe_u32 s12, ttmp6, 0x40004
	s_add_co_i32 s3, s3, 1
	s_getreg_b32 s13, hwreg(HW_REG_IB_STS2, 6, 4)
	s_mul_i32 s3, ttmp7, s3
	s_load_b64 s[16:17], s[0:1], 0x28
	s_add_co_i32 s12, s12, s3
	s_wait_kmcnt 0x0
	s_ashr_i32 s3, s2, 31
	s_cmp_eq_u32 s13, 0
	v_cmp_gt_i64_e64 s20, s[2:3], 1
	s_cselect_b32 s14, ttmp7, s12
	s_delay_alu instid0(SALU_CYCLE_1) | instskip(NEXT) | instid1(SALU_CYCLE_1)
	s_ashr_i32 s15, s14, 31
	s_mul_u64 s[6:7], s[6:7], s[14:15]
	s_delay_alu instid0(SALU_CYCLE_1) | instskip(NEXT) | instid1(SALU_CYCLE_1)
	s_lshl_b64 s[6:7], s[6:7], 3
	s_add_nc_u64 s[18:19], s[4:5], s[6:7]
	s_lshl_b64 s[4:5], s[2:3], 3
	v_cmp_lt_i64_e64 s7, s[2:3], 2
	s_add_nc_u64 s[12:13], s[18:19], s[4:5]
	s_mov_b32 s3, 1
	s_add_nc_u64 s[4:5], s[12:13], -8
	s_clause 0x1
	s_load_b64 s[22:23], s[18:19], 0x0
	s_load_b64 s[24:25], s[4:5], 0x0
	s_wait_xcnt 0x0
	s_mul_u64 s[4:5], s[10:11], s[14:15]
	s_delay_alu instid0(SALU_CYCLE_1) | instskip(NEXT) | instid1(SALU_CYCLE_1)
	s_lshl_b64 s[10:11], s[4:5], 3
	s_add_nc_u64 s[8:9], s[8:9], s[10:11]
	s_wait_kmcnt 0x0
	v_cmp_ge_f64_e64 s6, s[22:23], s[24:25]
	s_and_b32 s4, s6, exec_lo
	s_cselect_b32 s5, s23, s25
	s_cselect_b32 s4, s22, s24
	s_bitset0_b32 s5, 31
	s_and_b32 vcc_lo, exec_lo, s7
	v_mov_b64_e32 v[0:1], s[4:5]
	s_cbranch_vccnz .LBB14_3
; %bb.1:
	v_mov_b64_e32 v[0:1], s[4:5]
	v_mov_b64_e32 v[2:3], s[4:5]
	s_add_co_i32 s4, s2, -2
.LBB14_2:                               ; =>This Inner Loop Header: Depth=1
	s_and_b32 s5, s6, exec_lo
	s_cselect_b32 s10, s3, s4
	s_add_co_i32 s5, s3, -1
	s_and_b32 s7, s6, exec_lo
	s_cselect_b32 s22, s5, s4
	s_ashr_i32 s11, s10, 31
	s_ashr_i32 s23, s22, 31
	s_lshl_b64 s[10:11], s[10:11], 3
	s_lshl_b64 s[22:23], s[22:23], 3
	s_add_nc_u64 s[10:11], s[18:19], s[10:11]
	s_add_nc_u64 s[22:23], s[8:9], s[22:23]
	s_load_b64 s[10:11], s[10:11], 0x0
	s_add_co_i32 s3, s3, 1
	s_load_b64 s[22:23], s[22:23], 0x0
	s_add_co_i32 s4, s4, -1
	s_cmp_lg_u32 s3, s2
	s_wait_kmcnt 0x0
	v_add_f64_e64 v[4:5], v[2:3], |s[22:23]|
	s_delay_alu instid0(VALU_DEP_1) | instskip(SKIP_1) | instid1(VALU_DEP_2)
	v_div_scale_f64 v[6:7], null, v[4:5], v[4:5], v[2:3]
	v_div_scale_f64 v[12:13], vcc_lo, v[2:3], v[4:5], v[2:3]
	v_rcp_f64_e32 v[8:9], v[6:7]
	v_nop
	s_delay_alu instid0(TRANS32_DEP_1) | instskip(NEXT) | instid1(VALU_DEP_1)
	v_fma_f64 v[10:11], -v[6:7], v[8:9], 1.0
	v_fmac_f64_e32 v[8:9], v[8:9], v[10:11]
	s_delay_alu instid0(VALU_DEP_1) | instskip(NEXT) | instid1(VALU_DEP_1)
	v_fma_f64 v[10:11], -v[6:7], v[8:9], 1.0
	v_fmac_f64_e32 v[8:9], v[8:9], v[10:11]
	s_delay_alu instid0(VALU_DEP_1) | instskip(NEXT) | instid1(VALU_DEP_1)
	v_mul_f64_e32 v[10:11], v[12:13], v[8:9]
	v_fma_f64 v[6:7], -v[6:7], v[10:11], v[12:13]
	s_delay_alu instid0(VALU_DEP_1) | instskip(NEXT) | instid1(VALU_DEP_1)
	v_div_fmas_f64 v[6:7], v[6:7], v[8:9], v[10:11]
	v_div_fixup_f64 v[2:3], v[6:7], v[4:5], v[2:3]
	s_delay_alu instid0(VALU_DEP_1) | instskip(NEXT) | instid1(VALU_DEP_1)
	v_mul_f64_e64 v[2:3], |s[10:11]|, v[2:3]
	v_cmp_lt_f64_e32 vcc_lo, v[2:3], v[0:1]
	v_dual_cndmask_b32 v1, v1, v3 :: v_dual_cndmask_b32 v0, v0, v2
	s_cbranch_scc1 .LBB14_2
.LBB14_3:
	v_cvt_f64_i32_e32 v[2:3], s2
	s_load_b128 s[4:7], s[0:1], 0x58
	s_lshl_b32 s25, s2, 1
	s_add_co_i32 s3, s2, -1
	s_mul_i32 s10, s25, s14
	s_load_b256 s[36:43], s[0:1], 0x38
	s_ashr_i32 s11, s10, 31
	s_wait_xcnt 0x0
	s_load_b32 s0, s[0:1], 0x30
	s_lshl_b64 s[10:11], s[10:11], 2
	s_mov_b32 s26, 0
	s_mov_b32 s24, 0
	s_wait_kmcnt 0x0
	s_mul_u64 s[4:5], s[4:5], s[14:15]
	s_delay_alu instid0(SALU_CYCLE_1) | instskip(NEXT) | instid1(VALU_DEP_1)
	s_lshl_b64 s[22:23], s[4:5], 3
	v_cmp_gt_f64_e32 vcc_lo, 0x10000000, v[2:3]
	s_and_b32 s4, vcc_lo, exec_lo
	s_cselect_b32 s4, 0x100, 0
	s_delay_alu instid0(SALU_CYCLE_1) | instskip(SKIP_1) | instid1(VALU_DEP_1)
	v_ldexp_f64 v[2:3], v[2:3], s4
	s_cselect_b32 s4, 0xffffff80, 0
	v_rsq_f64_e32 v[4:5], v[2:3]
	v_cmp_class_f64_e64 vcc_lo, v[2:3], 0x260
	s_delay_alu instid0(TRANS32_DEP_1) | instskip(SKIP_1) | instid1(VALU_DEP_1)
	v_mul_f64_e32 v[6:7], v[2:3], v[4:5]
	v_mul_f64_e32 v[4:5], 0.5, v[4:5]
	v_fma_f64 v[8:9], -v[4:5], v[6:7], 0.5
	s_delay_alu instid0(VALU_DEP_1) | instskip(SKIP_1) | instid1(VALU_DEP_2)
	v_fmac_f64_e32 v[6:7], v[6:7], v[8:9]
	v_fmac_f64_e32 v[4:5], v[4:5], v[8:9]
	v_fma_f64 v[8:9], -v[6:7], v[6:7], v[2:3]
	s_delay_alu instid0(VALU_DEP_1) | instskip(NEXT) | instid1(VALU_DEP_1)
	v_fmac_f64_e32 v[6:7], v[8:9], v[4:5]
	v_fma_f64 v[8:9], -v[6:7], v[6:7], v[2:3]
	s_delay_alu instid0(VALU_DEP_1) | instskip(NEXT) | instid1(VALU_DEP_1)
	v_fmac_f64_e32 v[6:7], v[8:9], v[4:5]
	v_ldexp_f64 v[4:5], v[6:7], s4
	v_mul_f64_e32 v[6:7], s[38:39], v[0:1]
	s_add_nc_u64 s[4:5], s[40:41], s[10:11]
	s_mov_b32 s10, 0
	s_delay_alu instid0(VALU_DEP_2) | instskip(NEXT) | instid1(VALU_DEP_1)
	v_dual_cndmask_b32 v3, v5, v3 :: v_dual_cndmask_b32 v2, v4, v2
	v_div_scale_f64 v[4:5], null, v[2:3], v[2:3], v[6:7]
	v_div_scale_f64 v[12:13], vcc_lo, v[6:7], v[2:3], v[6:7]
	s_delay_alu instid0(VALU_DEP_2) | instskip(SKIP_1) | instid1(TRANS32_DEP_1)
	v_rcp_f64_e32 v[8:9], v[4:5]
	v_nop
	v_fma_f64 v[10:11], -v[4:5], v[8:9], 1.0
	s_delay_alu instid0(VALU_DEP_1) | instskip(NEXT) | instid1(VALU_DEP_1)
	v_fmac_f64_e32 v[8:9], v[8:9], v[10:11]
	v_fma_f64 v[10:11], -v[4:5], v[8:9], 1.0
	s_delay_alu instid0(VALU_DEP_1) | instskip(NEXT) | instid1(VALU_DEP_1)
	v_fmac_f64_e32 v[8:9], v[8:9], v[10:11]
	v_mul_f64_e32 v[10:11], v[12:13], v[8:9]
	s_delay_alu instid0(VALU_DEP_1) | instskip(NEXT) | instid1(VALU_DEP_1)
	v_fma_f64 v[4:5], -v[4:5], v[10:11], v[12:13]
	v_div_fmas_f64 v[4:5], v[4:5], v[8:9], v[10:11]
	v_cvt_f64_i32_e32 v[8:9], s0
	v_cndmask_b32_e64 v10, 0, 1, s20
	s_add_nc_u64 s[0:1], s[42:43], s[22:23]
	s_delay_alu instid0(VALU_DEP_3) | instskip(NEXT) | instid1(VALU_DEP_3)
	v_div_fixup_f64 v[2:3], v[4:5], v[2:3], v[6:7]
	v_dual_mul_f64 v[6:7], s[36:37], v[8:9] :: v_dual_mov_b32 v4, 0
	s_delay_alu instid0(VALU_DEP_1)
	v_cmp_lt_f64_e32 vcc_lo, v[2:3], v[6:7]
	v_dual_cndmask_b32 v3, v3, v7 :: v_dual_cndmask_b32 v2, v2, v6
	s_and_not1_b32 vcc_lo, exec_lo, s20
	global_store_b128 v4, v[0:3], s[0:1]
	s_cbranch_vccnz .LBB14_15
; %bb.4:
	s_wait_xcnt 0x0
	v_mov_b64_e32 v[0:1], 0
	s_mov_b32 s21, 0
	s_delay_alu instid0(SALU_CYCLE_1)
	s_mov_b32 s10, s21
	s_mov_b32 s20, s21
	s_branch .LBB14_7
.LBB14_5:                               ;   in Loop: Header=BB14_7 Depth=1
	s_mov_b32 s20, s11
.LBB14_6:                               ;   in Loop: Header=BB14_7 Depth=1
	v_and_b32_e32 v7, 0x7fffffff, v7
	s_wait_loadcnt 0x0
	v_cmp_nlg_f64_e64 s11, 0x7ff00000, |v[8:9]|
	s_delay_alu instid0(VALU_DEP_2) | instskip(SKIP_1) | instid1(SALU_CYCLE_1)
	v_cmp_nlg_f64_e32 vcc_lo, 0x7ff00000, v[6:7]
	s_or_b32 s11, s11, vcc_lo
	s_or_b32 s26, s11, s26
	s_cmp_eq_u32 s20, s3
	s_cbranch_scc1 .LBB14_15
.LBB14_7:                               ; =>This Inner Loop Header: Depth=1
	s_lshl_b32 s22, s20, 2
	s_delay_alu instid0(SALU_CYCLE_1) | instskip(NEXT) | instid1(SALU_CYCLE_1)
	s_or_b32 s11, s22, 3
	s_cmp_ge_i32 s11, s25
	s_cbranch_scc1 .LBB14_9
; %bb.8:                                ;   in Loop: Header=BB14_7 Depth=1
	s_mov_b32 s23, s21
	s_wait_xcnt 0x0
	v_dual_mov_b32 v5, v4 :: v_dual_mov_b32 v6, v4
	v_mov_b32_e32 v7, v4
	s_lshl_b64 s[22:23], s[22:23], 2
	s_delay_alu instid0(SALU_CYCLE_1)
	s_add_nc_u64 s[22:23], s[4:5], s[22:23]
	global_store_b128 v4, v[4:7], s[22:23]
	global_wb scope:SCOPE_DEV
	s_wait_storecnt 0x0
	global_inv scope:SCOPE_DEV
.LBB14_9:                               ;   in Loop: Header=BB14_7 Depth=1
	s_wait_xcnt 0x0
	v_mov_b32_e32 v5, s20
	s_mov_b32 s22, -1
	s_clause 0x1
	global_load_b64 v[6:7], v5, s[8:9] scale_offset
	global_load_b64 v[8:9], v5, s[18:19] scale_offset
	s_wait_loadcnt 0x1
	v_cmp_lt_f64_e64 s11, |v[6:7]|, v[2:3]
	s_and_b32 vcc_lo, exec_lo, s11
                                        ; implicit-def: $sgpr11
	s_cbranch_vccnz .LBB14_11
; %bb.10:                               ;   in Loop: Header=BB14_7 Depth=1
	s_add_co_i32 s11, s20, 1
	s_mov_b32 s22, 0
.LBB14_11:                              ;   in Loop: Header=BB14_7 Depth=1
	s_delay_alu instid0(SALU_CYCLE_1)
	s_and_not1_b32 vcc_lo, exec_lo, s22
	s_cbranch_vccnz .LBB14_5
; %bb.12:                               ;   in Loop: Header=BB14_7 Depth=1
	s_lshl_b64 s[22:23], s[20:21], 3
	s_cmp_ge_i32 s10, s20
	s_add_nc_u64 s[22:23], s[8:9], s[22:23]
	global_store_b64 v4, v[0:1], s[22:23]
	s_cbranch_scc1 .LBB14_14
; %bb.13:                               ;   in Loop: Header=BB14_7 Depth=1
	s_mov_b32 s11, s20
	s_wait_xcnt 0x0
	s_lshl_b32 s22, s24, 2
	v_mov_b64_e32 v[12:13], s[10:11]
	s_ashr_i32 s23, s22, 31
	s_add_co_i32 s24, s24, 1
	s_lshl_b64 s[10:11], s[22:23], 2
	s_delay_alu instid0(SALU_CYCLE_1)
	s_add_nc_u64 s[10:11], s[4:5], s[10:11]
	global_store_b64 v4, v[12:13], s[10:11] offset:4
.LBB14_14:                              ;   in Loop: Header=BB14_7 Depth=1
	s_add_co_i32 s20, s20, 1
	s_wait_xcnt 0x0
	s_mov_b32 s10, s20
	s_branch .LBB14_6
.LBB14_15:
	s_wait_xcnt 0x0
	v_mov_b32_e32 v2, 0
	s_cmp_lt_i32 s10, s3
	global_load_b64 v[0:1], v2, s[12:13] offset:-8
	s_cbranch_scc0 .LBB14_17
; %bb.16:
	s_lshl_b32 s20, s24, 2
	v_dual_mov_b32 v4, s10 :: v_dual_mov_b32 v5, s3
	s_ashr_i32 s21, s20, 31
	s_delay_alu instid0(SALU_CYCLE_1) | instskip(NEXT) | instid1(SALU_CYCLE_1)
	s_lshl_b64 s[10:11], s[20:21], 2
	s_add_nc_u64 s[4:5], s[4:5], s[10:11]
	global_store_b64 v2, v[4:5], s[4:5] offset:4
.LBB14_17:
	s_wait_loadcnt 0x0
	v_cmp_nlg_f64_e64 s4, 0x7ff00000, |v[0:1]|
	s_or_b32 s4, s4, s26
	s_delay_alu instid0(SALU_CYCLE_1)
	s_and_not1_b32 vcc_lo, exec_lo, s4
	s_mov_b32 s4, -1
	s_cbranch_vccz .LBB14_22
; %bb.18:
	s_add_co_i32 s5, s24, 1
	v_mov_b32_e32 v2, 0
	v_cvt_f64_i32_e32 v[0:1], s5
	s_lshl_b64 s[10:11], s[14:15], 2
	s_mov_b32 s4, 0
	s_cmp_lt_i32 s24, 0
	v_mov_b32_e32 v3, v2
	s_add_nc_u64 s[10:11], s[16:17], s[10:11]
	s_clause 0x1
	global_store_b128 v2, v[0:3], s[0:1] offset:16
	global_store_b32 v2, v2, s[10:11]
	s_cbranch_scc1 .LBB14_22
; %bb.19:
	s_wait_xcnt 0x1
	v_mov_b32_e32 v1, 0
	s_mov_b32 s0, 0
.LBB14_20:                              ; =>This Inner Loop Header: Depth=1
	v_mov_b32_e32 v0, s5
	s_wait_xcnt 0x0
	global_atomic_cmpswap_b32 v1, v2, v[0:1], s[6:7] offset:4 th:TH_ATOMIC_RETURN scope:SCOPE_DEV
	s_wait_loadcnt 0x0
	v_cmp_lt_i32_e32 vcc_lo, s24, v1
	s_or_b32 s0, vcc_lo, s0
	s_wait_xcnt 0x0
	s_and_not1_b32 exec_lo, exec_lo, s0
	s_cbranch_execnz .LBB14_20
; %bb.21:
	s_or_b32 exec_lo, exec_lo, s0
.LBB14_22:
	s_delay_alu instid0(SALU_CYCLE_1)
	s_and_not1_b32 vcc_lo, exec_lo, s4
	s_cbranch_vccnz .LBB14_28
; %bb.23:
	v_cmp_ne_u32_e32 vcc_lo, 1, v10
	s_cbranch_vccnz .LBB14_26
; %bb.24:
	s_wait_xcnt 0x1
	v_mov_b64_e32 v[0:1], 0x7ff8000000000000
	s_wait_xcnt 0x0
	v_mov_b32_e32 v2, 0
.LBB14_25:                              ; =>This Inner Loop Header: Depth=1
	s_add_co_i32 s3, s3, -1
	s_clause 0x1
	global_store_b64 v2, v[0:1], s[18:19]
	global_store_b64 v2, v[0:1], s[8:9]
	s_wait_xcnt 0x1
	s_add_nc_u64 s[18:19], s[18:19], 8
	s_cmp_eq_u32 s3, 0
	s_wait_xcnt 0x0
	s_add_nc_u64 s[8:9], s[8:9], 8
	s_cbranch_scc0 .LBB14_25
.LBB14_26:
	s_wait_xcnt 0x1
	s_mov_b32 s0, exec_lo
	s_wait_xcnt 0x0
	v_mov_b64_e32 v[2:3], 0x7ff8000000000000
	v_mbcnt_lo_u32_b32 v1, s0, 0
	v_dual_mov_b32 v0, 0 :: v_dual_mov_b32 v4, s2
	s_lshl_b64 s[4:5], s[14:15], 2
	v_mov_b32_e32 v5, 2
	s_add_nc_u64 s[8:9], s[16:17], s[4:5]
	s_add_nc_u64 s[2:3], s[6:7], s[4:5]
	s_clause 0x2
	global_store_b64 v0, v[2:3], s[12:13] offset:-8
	global_store_b32 v0, v4, s[8:9]
	global_store_b32 v0, v5, s[2:3] offset:8
	s_mov_b32 s1, exec_lo
	s_wait_xcnt 0x0
	v_cmpx_eq_u32_e32 0, v1
	s_cbranch_execz .LBB14_28
; %bb.27:
	s_bcnt1_i32_b32 s0, s0
	s_delay_alu instid0(SALU_CYCLE_1)
	v_mov_b32_e32 v1, s0
	global_atomic_add_u32 v0, v1, s[6:7] scope:SCOPE_DEV
.LBB14_28:
	s_endpgm
	.section	.rodata,"a",@progbits
	.p2align	6, 0x0
	.amdhsa_kernel _ZN9rocsolver6v33100L10bdsqr_initIddEEviPT0_lS3_lPiiS2_S2_S4_S3_lS4_
		.amdhsa_group_segment_fixed_size 0
		.amdhsa_private_segment_fixed_size 0
		.amdhsa_kernarg_size 104
		.amdhsa_user_sgpr_count 2
		.amdhsa_user_sgpr_dispatch_ptr 0
		.amdhsa_user_sgpr_queue_ptr 0
		.amdhsa_user_sgpr_kernarg_segment_ptr 1
		.amdhsa_user_sgpr_dispatch_id 0
		.amdhsa_user_sgpr_kernarg_preload_length 0
		.amdhsa_user_sgpr_kernarg_preload_offset 0
		.amdhsa_user_sgpr_private_segment_size 0
		.amdhsa_wavefront_size32 1
		.amdhsa_uses_dynamic_stack 0
		.amdhsa_enable_private_segment 0
		.amdhsa_system_sgpr_workgroup_id_x 1
		.amdhsa_system_sgpr_workgroup_id_y 1
		.amdhsa_system_sgpr_workgroup_id_z 0
		.amdhsa_system_sgpr_workgroup_info 0
		.amdhsa_system_vgpr_workitem_id 0
		.amdhsa_next_free_vgpr 14
		.amdhsa_next_free_sgpr 44
		.amdhsa_named_barrier_count 0
		.amdhsa_reserve_vcc 1
		.amdhsa_float_round_mode_32 0
		.amdhsa_float_round_mode_16_64 0
		.amdhsa_float_denorm_mode_32 3
		.amdhsa_float_denorm_mode_16_64 3
		.amdhsa_fp16_overflow 0
		.amdhsa_memory_ordered 1
		.amdhsa_forward_progress 1
		.amdhsa_inst_pref_size 13
		.amdhsa_round_robin_scheduling 0
		.amdhsa_exception_fp_ieee_invalid_op 0
		.amdhsa_exception_fp_denorm_src 0
		.amdhsa_exception_fp_ieee_div_zero 0
		.amdhsa_exception_fp_ieee_overflow 0
		.amdhsa_exception_fp_ieee_underflow 0
		.amdhsa_exception_fp_ieee_inexact 0
		.amdhsa_exception_int_div_zero 0
	.end_amdhsa_kernel
	.section	.text._ZN9rocsolver6v33100L10bdsqr_initIddEEviPT0_lS3_lPiiS2_S2_S4_S3_lS4_,"axG",@progbits,_ZN9rocsolver6v33100L10bdsqr_initIddEEviPT0_lS3_lPiiS2_S2_S4_S3_lS4_,comdat
.Lfunc_end14:
	.size	_ZN9rocsolver6v33100L10bdsqr_initIddEEviPT0_lS3_lPiiS2_S2_S4_S3_lS4_, .Lfunc_end14-_ZN9rocsolver6v33100L10bdsqr_initIddEEviPT0_lS3_lPiiS2_S2_S4_S3_lS4_
                                        ; -- End function
	.set _ZN9rocsolver6v33100L10bdsqr_initIddEEviPT0_lS3_lPiiS2_S2_S4_S3_lS4_.num_vgpr, 14
	.set _ZN9rocsolver6v33100L10bdsqr_initIddEEviPT0_lS3_lPiiS2_S2_S4_S3_lS4_.num_agpr, 0
	.set _ZN9rocsolver6v33100L10bdsqr_initIddEEviPT0_lS3_lPiiS2_S2_S4_S3_lS4_.numbered_sgpr, 44
	.set _ZN9rocsolver6v33100L10bdsqr_initIddEEviPT0_lS3_lPiiS2_S2_S4_S3_lS4_.num_named_barrier, 0
	.set _ZN9rocsolver6v33100L10bdsqr_initIddEEviPT0_lS3_lPiiS2_S2_S4_S3_lS4_.private_seg_size, 0
	.set _ZN9rocsolver6v33100L10bdsqr_initIddEEviPT0_lS3_lPiiS2_S2_S4_S3_lS4_.uses_vcc, 1
	.set _ZN9rocsolver6v33100L10bdsqr_initIddEEviPT0_lS3_lPiiS2_S2_S4_S3_lS4_.uses_flat_scratch, 0
	.set _ZN9rocsolver6v33100L10bdsqr_initIddEEviPT0_lS3_lPiiS2_S2_S4_S3_lS4_.has_dyn_sized_stack, 0
	.set _ZN9rocsolver6v33100L10bdsqr_initIddEEviPT0_lS3_lPiiS2_S2_S4_S3_lS4_.has_recursion, 0
	.set _ZN9rocsolver6v33100L10bdsqr_initIddEEviPT0_lS3_lPiiS2_S2_S4_S3_lS4_.has_indirect_call, 0
	.section	.AMDGPU.csdata,"",@progbits
; Kernel info:
; codeLenInByte = 1640
; TotalNumSgprs: 46
; NumVgprs: 14
; ScratchSize: 0
; MemoryBound: 0
; FloatMode: 240
; IeeeMode: 1
; LDSByteSize: 0 bytes/workgroup (compile time only)
; SGPRBlocks: 0
; VGPRBlocks: 0
; NumSGPRsForWavesPerEU: 46
; NumVGPRsForWavesPerEU: 14
; NamedBarCnt: 0
; Occupancy: 16
; WaveLimiterHint : 0
; COMPUTE_PGM_RSRC2:SCRATCH_EN: 0
; COMPUTE_PGM_RSRC2:USER_SGPR: 2
; COMPUTE_PGM_RSRC2:TRAP_HANDLER: 0
; COMPUTE_PGM_RSRC2:TGID_X_EN: 1
; COMPUTE_PGM_RSRC2:TGID_Y_EN: 1
; COMPUTE_PGM_RSRC2:TGID_Z_EN: 0
; COMPUTE_PGM_RSRC2:TIDIG_COMP_CNT: 0
	.section	.text._ZN9rocsolver6v33100L11swap_kernelIdiEEvT0_PT_S2_S4_S2_,"axG",@progbits,_ZN9rocsolver6v33100L11swap_kernelIdiEEvT0_PT_S2_S4_S2_,comdat
	.globl	_ZN9rocsolver6v33100L11swap_kernelIdiEEvT0_PT_S2_S4_S2_ ; -- Begin function _ZN9rocsolver6v33100L11swap_kernelIdiEEvT0_PT_S2_S4_S2_
	.p2align	8
	.type	_ZN9rocsolver6v33100L11swap_kernelIdiEEvT0_PT_S2_S4_S2_,@function
_ZN9rocsolver6v33100L11swap_kernelIdiEEvT0_PT_S2_S4_S2_: ; @_ZN9rocsolver6v33100L11swap_kernelIdiEEvT0_PT_S2_S4_S2_
; %bb.0:
	s_load_b32 s12, s[0:1], 0x0
	s_wait_kmcnt 0x0
	s_cmp_lt_i32 s12, 1
	s_cbranch_scc1 .LBB15_10
; %bb.1:
	s_clause 0x2
	s_load_b32 s2, s[0:1], 0x34
	s_load_b96 s[4:6], s[0:1], 0x8
	s_load_b96 s[8:10], s[0:1], 0x18
	s_bfe_u32 s3, ttmp6, 0x4000c
	s_wait_xcnt 0x0
	s_load_b32 s0, s[0:1], 0x28
	s_add_co_i32 s3, s3, 1
	s_wait_xcnt 0x0
	s_and_b32 s1, ttmp6, 15
	s_mul_i32 s3, ttmp9, s3
	s_getreg_b32 s7, hwreg(HW_REG_IB_STS2, 6, 4)
	s_add_co_i32 s1, s1, s3
	s_wait_kmcnt 0x0
	s_and_b32 s2, s2, 0xffff
	s_cmp_eq_u32 s7, 0
	s_cselect_b32 s1, ttmp9, s1
	s_cmp_eq_u32 s6, 1
	v_mad_u32 v0, s1, s2, v0
	s_cselect_b32 s1, -1, 0
	s_cmp_eq_u32 s10, 1
	s_mul_i32 s2, s0, s2
	s_cselect_b32 s3, -1, 0
	s_delay_alu instid0(SALU_CYCLE_1) | instskip(NEXT) | instid1(SALU_CYCLE_1)
	s_and_b32 s1, s1, s3
	s_and_b32 vcc_lo, exec_lo, s1
	s_mov_b32 s1, -1
	s_delay_alu instid0(VALU_DEP_1)
	v_cmp_gt_i32_e64 s0, s12, v0
	s_cbranch_vccnz .LBB15_6
; %bb.2:
	s_and_saveexec_b32 s1, s0
	s_cbranch_execz .LBB15_5
; %bb.3:
	v_ashrrev_i32_e32 v1, 31, v0
	s_ashr_i32 s7, s6, 31
	s_ashr_i32 s11, s10, 31
	;; [unrolled: 1-line block ×3, first 2 shown]
	s_delay_alu instid0(SALU_CYCLE_1)
	s_mul_u64 s[14:15], s[6:7], s[2:3]
	v_mul_u64_e32 v[2:3], s[10:11], v[0:1]
	v_mul_u64_e32 v[4:5], s[6:7], v[0:1]
	v_mov_b32_e32 v1, v0
	s_mul_u64 s[10:11], s[10:11], s[2:3]
	s_mov_b32 s3, 0
	s_lshl_b64 s[6:7], s[10:11], 3
	s_lshl_b64 s[10:11], s[14:15], 3
	s_delay_alu instid0(VALU_DEP_3) | instskip(NEXT) | instid1(VALU_DEP_3)
	v_lshl_add_u64 v[2:3], v[2:3], 3, s[8:9]
	v_lshl_add_u64 v[4:5], v[4:5], 3, s[4:5]
.LBB15_4:                               ; =>This Inner Loop Header: Depth=1
	global_load_b64 v[6:7], v[4:5], off
	global_load_b64 v[8:9], v[2:3], off
	v_add_nc_u32_e32 v1, s2, v1
	s_wait_loadcnt 0x1
	global_store_b64 v[2:3], v[6:7], off
	s_wait_loadcnt 0x0
	global_store_b64 v[4:5], v[8:9], off
	v_cmp_le_i32_e32 vcc_lo, s12, v1
	s_wait_xcnt 0x1
	v_add_nc_u64_e32 v[2:3], s[6:7], v[2:3]
	s_wait_xcnt 0x0
	v_add_nc_u64_e32 v[4:5], s[10:11], v[4:5]
	s_or_b32 s3, vcc_lo, s3
	s_delay_alu instid0(SALU_CYCLE_1)
	s_and_not1_b32 exec_lo, exec_lo, s3
	s_cbranch_execnz .LBB15_4
.LBB15_5:
	s_or_b32 exec_lo, exec_lo, s1
	s_mov_b32 s1, 0
.LBB15_6:
	s_delay_alu instid0(SALU_CYCLE_1)
	s_and_not1_b32 vcc_lo, exec_lo, s1
	s_cbranch_vccnz .LBB15_10
; %bb.7:
	s_and_saveexec_b32 s1, s0
	s_cbranch_execz .LBB15_10
; %bb.8:
	v_ashrrev_i32_e32 v1, 31, v0
	s_ashr_i32 s3, s2, 31
	s_delay_alu instid0(SALU_CYCLE_1) | instskip(SKIP_1) | instid1(VALU_DEP_1)
	s_lshl_b64 s[0:1], s[2:3], 3
	s_mov_b32 s3, 0
	v_lshlrev_b64_e32 v[2:3], 3, v[0:1]
.LBB15_9:                               ; =>This Inner Loop Header: Depth=1
	s_delay_alu instid0(VALU_DEP_1)
	v_add_nc_u64_e32 v[4:5], s[4:5], v[2:3]
	v_add_nc_u64_e32 v[6:7], s[8:9], v[2:3]
	v_add_nc_u32_e32 v0, s2, v0
	v_add_nc_u64_e32 v[2:3], s[0:1], v[2:3]
	global_load_b64 v[8:9], v[4:5], off
	global_load_b64 v[10:11], v[6:7], off
	v_cmp_le_i32_e32 vcc_lo, s12, v0
	s_wait_loadcnt 0x1
	global_store_b64 v[6:7], v[8:9], off
	s_wait_loadcnt 0x0
	global_store_b64 v[4:5], v[10:11], off
	s_or_b32 s3, vcc_lo, s3
	s_wait_xcnt 0x0
	s_and_not1_b32 exec_lo, exec_lo, s3
	s_cbranch_execnz .LBB15_9
.LBB15_10:
	s_endpgm
	.section	.rodata,"a",@progbits
	.p2align	6, 0x0
	.amdhsa_kernel _ZN9rocsolver6v33100L11swap_kernelIdiEEvT0_PT_S2_S4_S2_
		.amdhsa_group_segment_fixed_size 0
		.amdhsa_private_segment_fixed_size 0
		.amdhsa_kernarg_size 296
		.amdhsa_user_sgpr_count 2
		.amdhsa_user_sgpr_dispatch_ptr 0
		.amdhsa_user_sgpr_queue_ptr 0
		.amdhsa_user_sgpr_kernarg_segment_ptr 1
		.amdhsa_user_sgpr_dispatch_id 0
		.amdhsa_user_sgpr_kernarg_preload_length 0
		.amdhsa_user_sgpr_kernarg_preload_offset 0
		.amdhsa_user_sgpr_private_segment_size 0
		.amdhsa_wavefront_size32 1
		.amdhsa_uses_dynamic_stack 0
		.amdhsa_enable_private_segment 0
		.amdhsa_system_sgpr_workgroup_id_x 1
		.amdhsa_system_sgpr_workgroup_id_y 0
		.amdhsa_system_sgpr_workgroup_id_z 0
		.amdhsa_system_sgpr_workgroup_info 0
		.amdhsa_system_vgpr_workitem_id 0
		.amdhsa_next_free_vgpr 12
		.amdhsa_next_free_sgpr 16
		.amdhsa_named_barrier_count 0
		.amdhsa_reserve_vcc 1
		.amdhsa_float_round_mode_32 0
		.amdhsa_float_round_mode_16_64 0
		.amdhsa_float_denorm_mode_32 3
		.amdhsa_float_denorm_mode_16_64 3
		.amdhsa_fp16_overflow 0
		.amdhsa_memory_ordered 1
		.amdhsa_forward_progress 1
		.amdhsa_inst_pref_size 4
		.amdhsa_round_robin_scheduling 0
		.amdhsa_exception_fp_ieee_invalid_op 0
		.amdhsa_exception_fp_denorm_src 0
		.amdhsa_exception_fp_ieee_div_zero 0
		.amdhsa_exception_fp_ieee_overflow 0
		.amdhsa_exception_fp_ieee_underflow 0
		.amdhsa_exception_fp_ieee_inexact 0
		.amdhsa_exception_int_div_zero 0
	.end_amdhsa_kernel
	.section	.text._ZN9rocsolver6v33100L11swap_kernelIdiEEvT0_PT_S2_S4_S2_,"axG",@progbits,_ZN9rocsolver6v33100L11swap_kernelIdiEEvT0_PT_S2_S4_S2_,comdat
.Lfunc_end15:
	.size	_ZN9rocsolver6v33100L11swap_kernelIdiEEvT0_PT_S2_S4_S2_, .Lfunc_end15-_ZN9rocsolver6v33100L11swap_kernelIdiEEvT0_PT_S2_S4_S2_
                                        ; -- End function
	.set _ZN9rocsolver6v33100L11swap_kernelIdiEEvT0_PT_S2_S4_S2_.num_vgpr, 12
	.set _ZN9rocsolver6v33100L11swap_kernelIdiEEvT0_PT_S2_S4_S2_.num_agpr, 0
	.set _ZN9rocsolver6v33100L11swap_kernelIdiEEvT0_PT_S2_S4_S2_.numbered_sgpr, 16
	.set _ZN9rocsolver6v33100L11swap_kernelIdiEEvT0_PT_S2_S4_S2_.num_named_barrier, 0
	.set _ZN9rocsolver6v33100L11swap_kernelIdiEEvT0_PT_S2_S4_S2_.private_seg_size, 0
	.set _ZN9rocsolver6v33100L11swap_kernelIdiEEvT0_PT_S2_S4_S2_.uses_vcc, 1
	.set _ZN9rocsolver6v33100L11swap_kernelIdiEEvT0_PT_S2_S4_S2_.uses_flat_scratch, 0
	.set _ZN9rocsolver6v33100L11swap_kernelIdiEEvT0_PT_S2_S4_S2_.has_dyn_sized_stack, 0
	.set _ZN9rocsolver6v33100L11swap_kernelIdiEEvT0_PT_S2_S4_S2_.has_recursion, 0
	.set _ZN9rocsolver6v33100L11swap_kernelIdiEEvT0_PT_S2_S4_S2_.has_indirect_call, 0
	.section	.AMDGPU.csdata,"",@progbits
; Kernel info:
; codeLenInByte = 500
; TotalNumSgprs: 18
; NumVgprs: 12
; ScratchSize: 0
; MemoryBound: 0
; FloatMode: 240
; IeeeMode: 1
; LDSByteSize: 0 bytes/workgroup (compile time only)
; SGPRBlocks: 0
; VGPRBlocks: 0
; NumSGPRsForWavesPerEU: 18
; NumVGPRsForWavesPerEU: 12
; NamedBarCnt: 0
; Occupancy: 16
; WaveLimiterHint : 0
; COMPUTE_PGM_RSRC2:SCRATCH_EN: 0
; COMPUTE_PGM_RSRC2:USER_SGPR: 2
; COMPUTE_PGM_RSRC2:TRAP_HANDLER: 0
; COMPUTE_PGM_RSRC2:TGID_X_EN: 1
; COMPUTE_PGM_RSRC2:TGID_Y_EN: 0
; COMPUTE_PGM_RSRC2:TGID_Z_EN: 0
; COMPUTE_PGM_RSRC2:TIDIG_COMP_CNT: 0
	.section	.text._ZN9rocsolver6v33100L10rot_kernelIddiEEvT1_PT0_S2_S4_S2_T_S5_,"axG",@progbits,_ZN9rocsolver6v33100L10rot_kernelIddiEEvT1_PT0_S2_S4_S2_T_S5_,comdat
	.globl	_ZN9rocsolver6v33100L10rot_kernelIddiEEvT1_PT0_S2_S4_S2_T_S5_ ; -- Begin function _ZN9rocsolver6v33100L10rot_kernelIddiEEvT1_PT0_S2_S4_S2_T_S5_
	.p2align	8
	.type	_ZN9rocsolver6v33100L10rot_kernelIddiEEvT1_PT0_S2_S4_S2_T_S5_,@function
_ZN9rocsolver6v33100L10rot_kernelIddiEEvT1_PT0_S2_S4_S2_T_S5_: ; @_ZN9rocsolver6v33100L10rot_kernelIddiEEvT1_PT0_S2_S4_S2_T_S5_
; %bb.0:
	s_load_b32 s16, s[0:1], 0x0
	s_wait_kmcnt 0x0
	s_cmp_lt_i32 s16, 1
	s_cbranch_scc1 .LBB16_10
; %bb.1:
	s_clause 0x2
	s_load_b32 s2, s[0:1], 0x44
	s_load_b96 s[8:10], s[0:1], 0x8
	s_load_b96 s[12:14], s[0:1], 0x18
	s_bfe_u32 s3, ttmp6, 0x4000c
	s_and_b32 s4, ttmp6, 15
	s_add_co_i32 s3, s3, 1
	s_load_b32 s11, s[0:1], 0x38
	s_mul_i32 s3, ttmp9, s3
	s_getreg_b32 s5, hwreg(HW_REG_IB_STS2, 6, 4)
	s_add_co_i32 s3, s4, s3
	s_wait_kmcnt 0x0
	s_and_b32 s2, s2, 0xffff
	s_cmp_eq_u32 s5, 0
	s_load_b128 s[4:7], s[0:1], 0x28
	s_wait_xcnt 0x0
	s_cselect_b32 s0, ttmp9, s3
	s_cmp_eq_u32 s10, 1
	v_mad_u32 v0, s0, s2, v0
	s_cselect_b32 s0, -1, 0
	s_cmp_eq_u32 s14, 1
	s_mul_i32 s2, s11, s2
	s_cselect_b32 s1, -1, 0
	s_delay_alu instid0(SALU_CYCLE_1) | instskip(NEXT) | instid1(SALU_CYCLE_1)
	s_and_b32 s1, s0, s1
	s_and_b32 vcc_lo, exec_lo, s1
	s_mov_b32 s1, -1
	s_delay_alu instid0(VALU_DEP_1)
	v_cmp_gt_i32_e64 s0, s16, v0
	s_cbranch_vccnz .LBB16_6
; %bb.2:
	s_and_saveexec_b32 s1, s0
	s_cbranch_execz .LBB16_5
; %bb.3:
	v_ashrrev_i32_e32 v1, 31, v0
	s_ashr_i32 s11, s10, 31
	s_ashr_i32 s15, s14, 31
	;; [unrolled: 1-line block ×3, first 2 shown]
	s_delay_alu instid0(SALU_CYCLE_1)
	s_mul_u64 s[18:19], s[10:11], s[2:3]
	v_mul_u64_e32 v[2:3], s[14:15], v[0:1]
	v_mul_u64_e32 v[4:5], s[10:11], v[0:1]
	v_mov_b32_e32 v1, v0
	s_mul_u64 s[14:15], s[14:15], s[2:3]
	s_mov_b32 s3, 0
	s_lshl_b64 s[10:11], s[14:15], 3
	s_lshl_b64 s[14:15], s[18:19], 3
	s_delay_alu instid0(VALU_DEP_3) | instskip(NEXT) | instid1(VALU_DEP_3)
	v_lshl_add_u64 v[2:3], v[2:3], 3, s[12:13]
	v_lshl_add_u64 v[4:5], v[4:5], 3, s[8:9]
.LBB16_4:                               ; =>This Inner Loop Header: Depth=1
	global_load_b64 v[6:7], v[4:5], off
	global_load_b64 v[8:9], v[2:3], off
	v_add_nc_u32_e32 v1, s2, v1
	s_delay_alu instid0(VALU_DEP_1)
	v_cmp_le_i32_e32 vcc_lo, s16, v1
	s_or_b32 s3, vcc_lo, s3
	s_wait_loadcnt 0x1
	s_wait_kmcnt 0x0
	v_mul_f64_e32 v[10:11], s[6:7], v[6:7]
	s_wait_loadcnt 0x0
	v_mul_f64_e32 v[12:13], s[6:7], v[8:9]
	s_delay_alu instid0(VALU_DEP_2) | instskip(NEXT) | instid1(VALU_DEP_2)
	v_fma_f64 v[8:9], s[4:5], v[8:9], -v[10:11]
	v_fmac_f64_e32 v[12:13], s[4:5], v[6:7]
	global_store_b64 v[2:3], v[8:9], off
	global_store_b64 v[4:5], v[12:13], off
	s_wait_xcnt 0x1
	v_add_nc_u64_e32 v[2:3], s[10:11], v[2:3]
	s_wait_xcnt 0x0
	v_add_nc_u64_e32 v[4:5], s[14:15], v[4:5]
	s_and_not1_b32 exec_lo, exec_lo, s3
	s_cbranch_execnz .LBB16_4
.LBB16_5:
	s_or_b32 exec_lo, exec_lo, s1
	s_mov_b32 s1, 0
.LBB16_6:
	s_delay_alu instid0(SALU_CYCLE_1)
	s_and_not1_b32 vcc_lo, exec_lo, s1
	s_cbranch_vccnz .LBB16_10
; %bb.7:
	s_and_saveexec_b32 s1, s0
	s_cbranch_execz .LBB16_10
; %bb.8:
	v_ashrrev_i32_e32 v1, 31, v0
	s_ashr_i32 s3, s2, 31
	s_delay_alu instid0(SALU_CYCLE_1) | instskip(SKIP_1) | instid1(VALU_DEP_1)
	s_lshl_b64 s[0:1], s[2:3], 3
	s_mov_b32 s3, 0
	v_lshlrev_b64_e32 v[2:3], 3, v[0:1]
.LBB16_9:                               ; =>This Inner Loop Header: Depth=1
	s_delay_alu instid0(VALU_DEP_1)
	v_add_nc_u64_e32 v[4:5], s[8:9], v[2:3]
	v_add_nc_u64_e32 v[6:7], s[12:13], v[2:3]
	;; [unrolled: 1-line block ×3, first 2 shown]
	global_load_b64 v[8:9], v[4:5], off
	global_load_b64 v[10:11], v[6:7], off
	v_add_nc_u32_e32 v0, s2, v0
	s_delay_alu instid0(VALU_DEP_1)
	v_cmp_le_i32_e32 vcc_lo, s16, v0
	s_or_b32 s3, vcc_lo, s3
	s_wait_loadcnt 0x1
	s_wait_kmcnt 0x0
	v_mul_f64_e32 v[12:13], s[6:7], v[8:9]
	s_wait_loadcnt 0x0
	v_mul_f64_e32 v[14:15], s[6:7], v[10:11]
	s_delay_alu instid0(VALU_DEP_2) | instskip(NEXT) | instid1(VALU_DEP_2)
	v_fma_f64 v[10:11], s[4:5], v[10:11], -v[12:13]
	v_fmac_f64_e32 v[14:15], s[4:5], v[8:9]
	global_store_b64 v[6:7], v[10:11], off
	global_store_b64 v[4:5], v[14:15], off
	s_wait_xcnt 0x0
	s_and_not1_b32 exec_lo, exec_lo, s3
	s_cbranch_execnz .LBB16_9
.LBB16_10:
	s_endpgm
	.section	.rodata,"a",@progbits
	.p2align	6, 0x0
	.amdhsa_kernel _ZN9rocsolver6v33100L10rot_kernelIddiEEvT1_PT0_S2_S4_S2_T_S5_
		.amdhsa_group_segment_fixed_size 0
		.amdhsa_private_segment_fixed_size 0
		.amdhsa_kernarg_size 312
		.amdhsa_user_sgpr_count 2
		.amdhsa_user_sgpr_dispatch_ptr 0
		.amdhsa_user_sgpr_queue_ptr 0
		.amdhsa_user_sgpr_kernarg_segment_ptr 1
		.amdhsa_user_sgpr_dispatch_id 0
		.amdhsa_user_sgpr_kernarg_preload_length 0
		.amdhsa_user_sgpr_kernarg_preload_offset 0
		.amdhsa_user_sgpr_private_segment_size 0
		.amdhsa_wavefront_size32 1
		.amdhsa_uses_dynamic_stack 0
		.amdhsa_enable_private_segment 0
		.amdhsa_system_sgpr_workgroup_id_x 1
		.amdhsa_system_sgpr_workgroup_id_y 0
		.amdhsa_system_sgpr_workgroup_id_z 0
		.amdhsa_system_sgpr_workgroup_info 0
		.amdhsa_system_vgpr_workitem_id 0
		.amdhsa_next_free_vgpr 16
		.amdhsa_next_free_sgpr 20
		.amdhsa_named_barrier_count 0
		.amdhsa_reserve_vcc 1
		.amdhsa_float_round_mode_32 0
		.amdhsa_float_round_mode_16_64 0
		.amdhsa_float_denorm_mode_32 3
		.amdhsa_float_denorm_mode_16_64 3
		.amdhsa_fp16_overflow 0
		.amdhsa_memory_ordered 1
		.amdhsa_forward_progress 1
		.amdhsa_inst_pref_size 5
		.amdhsa_round_robin_scheduling 0
		.amdhsa_exception_fp_ieee_invalid_op 0
		.amdhsa_exception_fp_denorm_src 0
		.amdhsa_exception_fp_ieee_div_zero 0
		.amdhsa_exception_fp_ieee_overflow 0
		.amdhsa_exception_fp_ieee_underflow 0
		.amdhsa_exception_fp_ieee_inexact 0
		.amdhsa_exception_int_div_zero 0
	.end_amdhsa_kernel
	.section	.text._ZN9rocsolver6v33100L10rot_kernelIddiEEvT1_PT0_S2_S4_S2_T_S5_,"axG",@progbits,_ZN9rocsolver6v33100L10rot_kernelIddiEEvT1_PT0_S2_S4_S2_T_S5_,comdat
.Lfunc_end16:
	.size	_ZN9rocsolver6v33100L10rot_kernelIddiEEvT1_PT0_S2_S4_S2_T_S5_, .Lfunc_end16-_ZN9rocsolver6v33100L10rot_kernelIddiEEvT1_PT0_S2_S4_S2_T_S5_
                                        ; -- End function
	.set _ZN9rocsolver6v33100L10rot_kernelIddiEEvT1_PT0_S2_S4_S2_T_S5_.num_vgpr, 16
	.set _ZN9rocsolver6v33100L10rot_kernelIddiEEvT1_PT0_S2_S4_S2_T_S5_.num_agpr, 0
	.set _ZN9rocsolver6v33100L10rot_kernelIddiEEvT1_PT0_S2_S4_S2_T_S5_.numbered_sgpr, 20
	.set _ZN9rocsolver6v33100L10rot_kernelIddiEEvT1_PT0_S2_S4_S2_T_S5_.num_named_barrier, 0
	.set _ZN9rocsolver6v33100L10rot_kernelIddiEEvT1_PT0_S2_S4_S2_T_S5_.private_seg_size, 0
	.set _ZN9rocsolver6v33100L10rot_kernelIddiEEvT1_PT0_S2_S4_S2_T_S5_.uses_vcc, 1
	.set _ZN9rocsolver6v33100L10rot_kernelIddiEEvT1_PT0_S2_S4_S2_T_S5_.uses_flat_scratch, 0
	.set _ZN9rocsolver6v33100L10rot_kernelIddiEEvT1_PT0_S2_S4_S2_T_S5_.has_dyn_sized_stack, 0
	.set _ZN9rocsolver6v33100L10rot_kernelIddiEEvT1_PT0_S2_S4_S2_T_S5_.has_recursion, 0
	.set _ZN9rocsolver6v33100L10rot_kernelIddiEEvT1_PT0_S2_S4_S2_T_S5_.has_indirect_call, 0
	.section	.AMDGPU.csdata,"",@progbits
; Kernel info:
; codeLenInByte = 564
; TotalNumSgprs: 22
; NumVgprs: 16
; ScratchSize: 0
; MemoryBound: 0
; FloatMode: 240
; IeeeMode: 1
; LDSByteSize: 0 bytes/workgroup (compile time only)
; SGPRBlocks: 0
; VGPRBlocks: 0
; NumSGPRsForWavesPerEU: 22
; NumVGPRsForWavesPerEU: 16
; NamedBarCnt: 0
; Occupancy: 16
; WaveLimiterHint : 0
; COMPUTE_PGM_RSRC2:SCRATCH_EN: 0
; COMPUTE_PGM_RSRC2:USER_SGPR: 2
; COMPUTE_PGM_RSRC2:TRAP_HANDLER: 0
; COMPUTE_PGM_RSRC2:TGID_X_EN: 1
; COMPUTE_PGM_RSRC2:TGID_Y_EN: 0
; COMPUTE_PGM_RSRC2:TGID_Z_EN: 0
; COMPUTE_PGM_RSRC2:TIDIG_COMP_CNT: 0
	.section	.text._ZN9rocsolver6v33100L11lasr_kernelIddPdiEEv13rocblas_side_14rocblas_pivot_15rocblas_direct_T2_S6_PT0_lS8_lT1_lS6_lS6_,"axG",@progbits,_ZN9rocsolver6v33100L11lasr_kernelIddPdiEEv13rocblas_side_14rocblas_pivot_15rocblas_direct_T2_S6_PT0_lS8_lT1_lS6_lS6_,comdat
	.globl	_ZN9rocsolver6v33100L11lasr_kernelIddPdiEEv13rocblas_side_14rocblas_pivot_15rocblas_direct_T2_S6_PT0_lS8_lT1_lS6_lS6_ ; -- Begin function _ZN9rocsolver6v33100L11lasr_kernelIddPdiEEv13rocblas_side_14rocblas_pivot_15rocblas_direct_T2_S6_PT0_lS8_lT1_lS6_lS6_
	.p2align	8
	.type	_ZN9rocsolver6v33100L11lasr_kernelIddPdiEEv13rocblas_side_14rocblas_pivot_15rocblas_direct_T2_S6_PT0_lS8_lT1_lS6_lS6_,@function
_ZN9rocsolver6v33100L11lasr_kernelIddPdiEEv13rocblas_side_14rocblas_pivot_15rocblas_direct_T2_S6_PT0_lS8_lT1_lS6_lS6_: ; @_ZN9rocsolver6v33100L11lasr_kernelIddPdiEEv13rocblas_side_14rocblas_pivot_15rocblas_direct_T2_S6_PT0_lS8_lT1_lS6_lS6_
; %bb.0:
	s_load_b32 s33, s[0:1], 0x58
	s_bfe_u32 s2, ttmp6, 0x40014
	s_lshr_b32 s3, ttmp7, 16
	s_add_co_i32 s2, s2, 1
	s_bfe_u32 s5, ttmp6, 0x40008
	s_mul_i32 s2, s3, s2
	s_getreg_b32 s4, hwreg(HW_REG_IB_STS2, 6, 4)
	s_add_co_i32 s5, s5, s2
	s_cmp_eq_u32 s4, 0
	s_cselect_b32 s2, s3, s5
	s_mov_b32 s3, 0
	s_wait_kmcnt 0x0
	s_cmp_ge_u32 s2, s33
	s_cbranch_scc1 .LBB17_108
; %bb.1:
	s_clause 0x3
	s_load_b32 s20, s[0:1], 0x48
	s_load_b64 s[22:23], s[0:1], 0x68
	s_load_b128 s[16:19], s[0:1], 0x38
	s_load_b128 s[12:15], s[0:1], 0x0
	s_bfe_u32 s5, ttmp6, 0x4000c
	s_and_b32 s6, ttmp6, 15
	s_add_co_i32 s5, s5, 1
	s_load_b32 s24, s[0:1], 0x60
	s_mul_i32 s5, ttmp9, s5
	s_mov_b32 s37, s3
	s_add_co_i32 s6, s6, s5
	s_mov_b32 s49, s3
	s_wait_kmcnt 0x0
	s_ashr_i32 s21, s20, 31
	s_and_b32 s25, s23, 0xffff
	s_cmp_eq_u32 s4, 0
	s_load_b32 s23, s[0:1], 0x10
	s_cselect_b32 s26, ttmp9, s6
	s_lshl_b64 s[46:47], s[18:19], 3
	v_mad_u32 v0, s26, s25, v0
	s_cmp_eq_u32 s12, 0x8d
	s_load_b64 s[18:19], s[0:1], 0x50
	s_cselect_b32 s27, -1, 0
	s_cmp_eq_u32 s12, 0x8e
	s_load_b256 s[4:11], s[0:1], 0x18
	s_cselect_b32 s28, -1, 0
	s_cmp_eq_u32 s13, 0x119
	s_mul_i32 s12, s24, s25
	s_cselect_b32 s29, -1, 0
	s_cmp_eq_u32 s13, 0x11b
	v_ashrrev_i32_e32 v1, 31, v0
	s_wait_xcnt 0x0
	s_cselect_b32 s0, -1, 0
	s_cmp_eq_u32 s13, 0x11a
	s_add_nc_u64 s[24:25], s[16:17], s[46:47]
	s_cselect_b32 s1, -1, 0
	v_mul_u64_e32 v[8:9], s[20:21], v[0:1]
	s_cmp_eq_u32 s14, 0xab
	v_lshlrev_b64_e32 v[10:11], 3, v[0:1]
	s_cselect_b32 s13, -1, 0
	s_cmp_eq_u32 s14, 0xac
	v_mov_b32_e32 v1, 0
	s_cselect_b32 s30, -1, 0
	s_and_b32 s26, s27, s1
	s_and_b32 s14, s27, s29
	;; [unrolled: 1-line block ×6, first 2 shown]
	s_xor_b32 s78, s26, -1
	s_and_b32 s26, s28, s29
	s_and_b32 s1, s28, s1
	;; [unrolled: 1-line block ×3, first 2 shown]
	v_cmp_gt_i32_e64 s0, s15, v0
	s_and_b32 s34, s14, s30
	s_xor_b32 s14, s31, -1
	s_and_b32 s31, s27, s13
	s_and_b32 s27, s27, s30
	;; [unrolled: 1-line block ×3, first 2 shown]
	s_xor_b32 s80, s27, -1
	s_and_b32 s26, s26, s30
	s_and_b32 s27, s1, s13
	;; [unrolled: 1-line block ×3, first 2 shown]
	s_xor_b32 s82, s26, -1
	s_and_b32 s13, s28, s13
	s_xor_b32 s84, s1, -1
	s_wait_kmcnt 0x0
	s_add_co_i32 s26, s23, -1
	s_and_b32 s1, s30, s0
	s_xor_b32 s76, s34, -1
	s_xor_b32 s77, s35, -1
	;; [unrolled: 1-line block ×6, first 2 shown]
	s_ashr_i32 s27, s26, 31
	s_and_b32 s86, s28, s1
	s_add_co_i32 s36, s23, -2
	s_cmp_gt_i32 s23, 1
	s_mul_u64 s[28:29], s[20:21], s[26:27]
	s_mov_b32 s27, s3
	s_cselect_b32 s87, -1, 0
	s_ashr_i32 s31, s15, 31
	s_add_co_i32 s48, s15, -2
	s_cmp_gt_i32 s15, 1
	s_mul_u64 s[50:51], s[20:21], s[26:27]
	s_cselect_b32 s88, -1, 0
	s_lshl_b64 s[50:51], s[50:51], 3
	s_lshl_b64 s[42:43], s[20:21], 3
	s_add_nc_u64 s[50:51], s[50:51], s[46:47]
	s_lshl_b64 s[38:39], s[36:37], 3
	s_mul_u64 s[36:37], s[20:21], s[36:37]
	s_add_nc_u64 s[50:51], s[16:17], s[50:51]
	s_add_nc_u64 s[52:53], s[46:47], s[42:43]
	s_lshl_b64 s[36:37], s[36:37], 3
	v_add_nc_u64_e32 v[6:7], s[50:51], v[10:11]
	s_add_nc_u64 s[50:51], s[16:17], s[52:53]
	v_lshl_add_u64 v[14:15], v[8:9], 3, s[46:47]
	s_add_nc_u64 s[40:41], s[36:37], s[46:47]
	v_add_nc_u64_e32 v[8:9], s[50:51], v[10:11]
	s_lshl_b64 s[50:51], s[48:49], 3
	s_add_nc_u64 s[34:35], s[4:5], s[38:39]
	s_add_nc_u64 s[36:37], s[8:9], s[38:39]
	;; [unrolled: 1-line block ×4, first 2 shown]
	v_add_nc_u64_e32 v[2:3], s[38:39], v[10:11]
	v_add_nc_u64_e32 v[4:5], s[24:25], v[10:11]
	;; [unrolled: 1-line block ×4, first 2 shown]
	s_add_co_i32 s46, s15, -1
	s_mov_b32 s47, s3
	s_ashr_i32 s13, s12, 31
	s_lshl_b64 s[52:53], s[46:47], 3
	v_cmp_gt_i32_e64 s1, s23, v0
	s_add_nc_u64 s[16:17], s[16:17], s[52:53]
	v_add_nc_u64_e32 v[16:17], 8, v[10:11]
	v_add_nc_u64_e32 v[14:15], s[16:17], v[14:15]
	;; [unrolled: 1-line block ×3, first 2 shown]
	s_mul_u64 s[52:53], s[20:21], s[12:13]
	s_mov_b32 s30, s15
	s_lshl_b64 s[6:7], s[6:7], 3
	s_lshl_b64 s[10:11], s[10:11], 3
	;; [unrolled: 1-line block ×4, first 2 shown]
	s_sub_nc_u64 s[44:45], 0, s[42:43]
	s_add_co_i32 s27, s23, 1
	s_add_nc_u64 s[48:49], s[4:5], s[50:51]
	s_add_nc_u64 s[16:17], s[8:9], s[50:51]
	s_lshl_b64 s[50:51], s[52:53], 3
	s_add_co_i32 s13, s15, 1
	s_branch .LBB17_4
.LBB17_2:                               ;   in Loop: Header=BB17_4 Depth=1
	s_or_b32 exec_lo, exec_lo, s47
.LBB17_3:                               ;   in Loop: Header=BB17_4 Depth=1
	s_add_co_i32 s2, s2, s22
	s_delay_alu instid0(SALU_CYCLE_1)
	s_cmp_ge_u32 s2, s33
	s_cbranch_scc1 .LBB17_108
.LBB17_4:                               ; =>This Loop Header: Depth=1
                                        ;     Child Loop BB17_19 Depth 2
                                        ;       Child Loop BB17_20 Depth 3
                                        ;     Child Loop BB17_26 Depth 2
                                        ;       Child Loop BB17_27 Depth 3
	;; [unrolled: 2-line block ×12, first 2 shown]
	s_mul_u64 s[62:63], s[38:39], s[2:3]
	s_mul_u64 s[54:55], s[18:19], s[2:3]
	v_add_nc_u64_e32 v[20:21], s[62:63], v[16:17]
	s_mul_u64 s[64:65], s[6:7], s[2:3]
	s_mul_u64 s[66:67], s[10:11], s[2:3]
	s_lshl_b64 s[56:57], s[54:55], 3
	s_add_nc_u64 s[52:53], s[4:5], s[64:65]
	s_add_nc_u64 s[54:55], s[8:9], s[66:67]
	;; [unrolled: 1-line block ×3, first 2 shown]
	s_and_b32 vcc_lo, exec_lo, s14
	s_mov_b32 s47, -1
	s_cbranch_vccnz .LBB17_6
; %bb.5:                                ;   in Loop: Header=BB17_4 Depth=1
	s_and_not1_b32 vcc_lo, exec_lo, s47
	s_cbranch_vccnz .LBB17_3
	s_branch .LBB17_103
.LBB17_6:                               ;   in Loop: Header=BB17_4 Depth=1
	s_add_nc_u64 s[58:59], s[48:49], s[64:65]
	s_add_nc_u64 s[60:61], s[16:17], s[66:67]
	s_and_b32 vcc_lo, exec_lo, s76
	s_cbranch_vccz .LBB17_95
; %bb.7:                                ;   in Loop: Header=BB17_4 Depth=1
	s_and_b32 vcc_lo, exec_lo, s77
	s_cbranch_vccz .LBB17_87
; %bb.8:                                ;   in Loop: Header=BB17_4 Depth=1
	;; [unrolled: 3-line block ×3, first 2 shown]
	s_and_b32 vcc_lo, exec_lo, s79
	s_cbranch_vccz .LBB17_71
; %bb.10:                               ;   in Loop: Header=BB17_4 Depth=1
	s_and_b32 vcc_lo, exec_lo, s80
	s_cbranch_vccz .LBB17_63
; %bb.11:                               ;   in Loop: Header=BB17_4 Depth=1
	v_add_nc_u64_e32 v[22:23], s[62:63], v[4:5]
	s_and_b32 vcc_lo, exec_lo, s81
	s_cbranch_vccz .LBB17_55
; %bb.12:                               ;   in Loop: Header=BB17_4 Depth=1
	v_add_nc_u64_e32 v[24:25], s[62:63], v[6:7]
	v_add_nc_u64_e32 v[26:27], s[62:63], v[2:3]
	s_add_nc_u64 s[64:65], s[34:35], s[64:65]
	s_add_nc_u64 s[66:67], s[36:37], s[66:67]
	s_and_b32 vcc_lo, exec_lo, s82
	s_cbranch_vccz .LBB17_46
; %bb.13:                               ;   in Loop: Header=BB17_4 Depth=1
	s_and_b32 vcc_lo, exec_lo, s83
	s_cbranch_vccz .LBB17_38
; %bb.14:                               ;   in Loop: Header=BB17_4 Depth=1
	;; [unrolled: 3-line block ×4, first 2 shown]
	s_and_saveexec_b32 s47, s86
	s_cbranch_execz .LBB17_21
; %bb.17:                               ;   in Loop: Header=BB17_4 Depth=1
	v_mov_b64_e32 v[28:29], v[26:27]
	v_mov_b32_e32 v30, v0
	s_lshl_b64 s[68:69], s[28:29], 3
	s_mov_b32 s74, 0
	s_add_nc_u64 s[68:69], s[56:57], s[68:69]
	s_branch .LBB17_19
.LBB17_18:                              ;   in Loop: Header=BB17_19 Depth=2
	v_ashrrev_i32_e32 v31, 31, v30
	v_add_nc_u64_e32 v[28:29], s[40:41], v[28:29]
	s_delay_alu instid0(VALU_DEP_2)
	v_lshl_add_u64 v[34:35], v[30:31], 3, s[68:69]
	s_wait_xcnt 0x0
	v_add_nc_u32_e32 v30, s12, v30
	s_wait_loadcnt 0x0
	global_store_b64 v[34:35], v[32:33], off
	v_cmp_le_i32_e32 vcc_lo, s15, v30
	s_or_b32 s74, vcc_lo, s74
	s_wait_xcnt 0x0
	s_and_not1_b32 exec_lo, exec_lo, s74
	s_cbranch_execz .LBB17_21
.LBB17_19:                              ;   Parent Loop BB17_4 Depth=1
                                        ; =>  This Loop Header: Depth=2
                                        ;       Child Loop BB17_20 Depth 3
	global_load_b64 v[32:33], v30, s[68:69] scale_offset
	v_mov_b64_e32 v[34:35], v[28:29]
	s_and_not1_b32 vcc_lo, exec_lo, s87
	s_mov_b64 s[70:71], s[66:67]
	s_mov_b64 s[72:73], s[64:65]
	s_mov_b32 s75, s26
	s_cbranch_vccnz .LBB17_18
.LBB17_20:                              ;   Parent Loop BB17_4 Depth=1
                                        ;     Parent Loop BB17_19 Depth=2
                                        ; =>    This Inner Loop Header: Depth=3
	global_load_b64 v[36:37], v[34:35], off
	s_clause 0x1
	global_load_b64 v[38:39], v1, s[72:73]
	global_load_b64 v[40:41], v1, s[70:71]
	s_add_co_i32 s75, s75, -1
	s_wait_xcnt 0x1
	s_add_nc_u64 s[72:73], s[72:73], -8
	s_cmp_eq_u32 s75, 0
	s_wait_xcnt 0x0
	s_add_nc_u64 s[70:71], s[70:71], -8
	s_wait_loadcnt 0x1
	v_mul_f64_e32 v[42:43], v[38:39], v[36:37]
	s_wait_loadcnt 0x0
	v_mul_f64_e32 v[36:37], v[40:41], v[36:37]
	s_delay_alu instid0(VALU_DEP_2) | instskip(NEXT) | instid1(VALU_DEP_2)
	v_fmac_f64_e32 v[42:43], v[32:33], v[40:41]
	v_fma_f64 v[32:33], v[32:33], v[38:39], -v[36:37]
	global_store_b64 v[34:35], v[42:43], off
	s_wait_xcnt 0x0
	v_add_nc_u64_e32 v[34:35], s[44:45], v[34:35]
	s_cbranch_scc0 .LBB17_20
	s_branch .LBB17_18
.LBB17_21:                              ;   in Loop: Header=BB17_4 Depth=1
	s_or_b32 exec_lo, exec_lo, s47
	s_mov_b32 s47, 0
.LBB17_22:                              ;   in Loop: Header=BB17_4 Depth=1
	s_delay_alu instid0(SALU_CYCLE_1)
	s_and_not1_b32 vcc_lo, exec_lo, s47
	s_cbranch_vccnz .LBB17_29
; %bb.23:                               ;   in Loop: Header=BB17_4 Depth=1
	s_and_saveexec_b32 s47, s0
	s_cbranch_execz .LBB17_28
; %bb.24:                               ;   in Loop: Header=BB17_4 Depth=1
	v_mov_b64_e32 v[28:29], v[22:23]
	v_mov_b32_e32 v30, v0
	s_lshl_b64 s[68:69], s[28:29], 3
	s_mov_b32 s74, 0
	s_add_nc_u64 s[68:69], s[56:57], s[68:69]
	s_branch .LBB17_26
.LBB17_25:                              ;   in Loop: Header=BB17_26 Depth=2
	v_ashrrev_i32_e32 v31, 31, v30
	v_add_nc_u64_e32 v[28:29], s[40:41], v[28:29]
	s_delay_alu instid0(VALU_DEP_2)
	v_lshl_add_u64 v[34:35], v[30:31], 3, s[68:69]
	s_wait_xcnt 0x0
	v_add_nc_u32_e32 v30, s12, v30
	s_wait_loadcnt 0x0
	global_store_b64 v[34:35], v[32:33], off
	v_cmp_le_i32_e32 vcc_lo, s15, v30
	s_or_b32 s74, vcc_lo, s74
	s_wait_xcnt 0x0
	s_and_not1_b32 exec_lo, exec_lo, s74
	s_cbranch_execz .LBB17_28
.LBB17_26:                              ;   Parent Loop BB17_4 Depth=1
                                        ; =>  This Loop Header: Depth=2
                                        ;       Child Loop BB17_27 Depth 3
	global_load_b64 v[32:33], v30, s[68:69] scale_offset
	v_mov_b64_e32 v[34:35], v[28:29]
	s_and_not1_b32 vcc_lo, exec_lo, s87
	s_mov_b64 s[70:71], s[54:55]
	s_mov_b64 s[72:73], s[52:53]
	s_mov_b32 s75, s26
	s_cbranch_vccnz .LBB17_25
.LBB17_27:                              ;   Parent Loop BB17_4 Depth=1
                                        ;     Parent Loop BB17_26 Depth=2
                                        ; =>    This Inner Loop Header: Depth=3
	global_load_b64 v[36:37], v[34:35], off
	s_clause 0x1
	global_load_b64 v[38:39], v1, s[72:73]
	global_load_b64 v[40:41], v1, s[70:71]
	s_add_co_i32 s75, s75, -1
	s_wait_xcnt 0x1
	s_add_nc_u64 s[72:73], s[72:73], 8
	s_cmp_eq_u32 s75, 0
	s_wait_xcnt 0x0
	s_add_nc_u64 s[70:71], s[70:71], 8
	s_wait_loadcnt 0x1
	v_mul_f64_e32 v[42:43], v[38:39], v[36:37]
	s_wait_loadcnt 0x0
	v_mul_f64_e32 v[36:37], v[40:41], v[36:37]
	s_delay_alu instid0(VALU_DEP_2) | instskip(NEXT) | instid1(VALU_DEP_2)
	v_fmac_f64_e32 v[42:43], v[32:33], v[40:41]
	v_fma_f64 v[32:33], v[32:33], v[38:39], -v[36:37]
	global_store_b64 v[34:35], v[42:43], off
	s_wait_xcnt 0x0
	v_add_nc_u64_e32 v[34:35], s[42:43], v[34:35]
	s_cbranch_scc0 .LBB17_27
	s_branch .LBB17_25
.LBB17_28:                              ;   in Loop: Header=BB17_4 Depth=1
	s_or_b32 exec_lo, exec_lo, s47
.LBB17_29:                              ;   in Loop: Header=BB17_4 Depth=1
	s_mov_b32 s47, 0
.LBB17_30:                              ;   in Loop: Header=BB17_4 Depth=1
	s_delay_alu instid0(SALU_CYCLE_1)
	s_and_not1_b32 vcc_lo, exec_lo, s47
	s_cbranch_vccnz .LBB17_37
; %bb.31:                               ;   in Loop: Header=BB17_4 Depth=1
	s_and_saveexec_b32 s47, s0
	s_cbranch_execz .LBB17_36
; %bb.32:                               ;   in Loop: Header=BB17_4 Depth=1
	v_mov_b64_e32 v[28:29], v[24:25]
	v_mov_b32_e32 v30, v0
	s_mov_b32 s72, 0
	s_branch .LBB17_34
.LBB17_33:                              ;   in Loop: Header=BB17_34 Depth=2
	v_ashrrev_i32_e32 v31, 31, v30
	v_add_nc_u64_e32 v[28:29], s[40:41], v[28:29]
	s_delay_alu instid0(VALU_DEP_2)
	v_lshl_add_u64 v[34:35], v[30:31], 3, s[56:57]
	s_wait_xcnt 0x0
	v_add_nc_u32_e32 v30, s12, v30
	s_wait_loadcnt 0x0
	global_store_b64 v[34:35], v[32:33], off
	v_cmp_le_i32_e32 vcc_lo, s15, v30
	s_or_b32 s72, vcc_lo, s72
	s_wait_xcnt 0x0
	s_and_not1_b32 exec_lo, exec_lo, s72
	s_cbranch_execz .LBB17_36
.LBB17_34:                              ;   Parent Loop BB17_4 Depth=1
                                        ; =>  This Loop Header: Depth=2
                                        ;       Child Loop BB17_35 Depth 3
	global_load_b64 v[32:33], v30, s[56:57] scale_offset
	v_mov_b64_e32 v[34:35], v[28:29]
	s_and_not1_b32 vcc_lo, exec_lo, s87
	s_mov_b64 s[68:69], s[66:67]
	s_mov_b64 s[70:71], s[64:65]
	s_mov_b32 s73, s27
	s_cbranch_vccnz .LBB17_33
.LBB17_35:                              ;   Parent Loop BB17_4 Depth=1
                                        ;     Parent Loop BB17_34 Depth=2
                                        ; =>    This Inner Loop Header: Depth=3
	s_clause 0x1
	global_load_b64 v[36:37], v1, s[68:69]
	global_load_b64 v[38:39], v1, s[70:71]
	global_load_b64 v[40:41], v[34:35], off
	s_wait_loadcnt 0x3
	v_mov_b64_e32 v[42:43], v[32:33]
	s_add_co_i32 s73, s73, -1
	s_wait_xcnt 0x1
	s_add_nc_u64 s[70:71], s[70:71], -8
	s_cmp_lt_u32 s73, 3
	s_add_nc_u64 s[68:69], s[68:69], -8
	s_wait_loadcnt 0x2
	v_mul_f64_e32 v[44:45], v[42:43], v[36:37]
	s_wait_loadcnt 0x0
	v_mul_f64_e32 v[32:33], v[36:37], v[40:41]
	s_delay_alu instid0(VALU_DEP_2) | instskip(NEXT) | instid1(VALU_DEP_2)
	v_fma_f64 v[36:37], v[38:39], v[40:41], -v[44:45]
	v_fmac_f64_e32 v[32:33], v[42:43], v[38:39]
	global_store_b64 v[34:35], v[36:37], off
	s_wait_xcnt 0x0
	v_add_nc_u64_e32 v[34:35], s[44:45], v[34:35]
	s_cbranch_scc0 .LBB17_35
	s_branch .LBB17_33
.LBB17_36:                              ;   in Loop: Header=BB17_4 Depth=1
	s_or_b32 exec_lo, exec_lo, s47
.LBB17_37:                              ;   in Loop: Header=BB17_4 Depth=1
	s_mov_b32 s47, 0
.LBB17_38:                              ;   in Loop: Header=BB17_4 Depth=1
	s_delay_alu instid0(SALU_CYCLE_1)
	s_and_not1_b32 vcc_lo, exec_lo, s47
	s_cbranch_vccnz .LBB17_45
; %bb.39:                               ;   in Loop: Header=BB17_4 Depth=1
	s_and_saveexec_b32 s47, s0
	s_cbranch_execz .LBB17_44
; %bb.40:                               ;   in Loop: Header=BB17_4 Depth=1
	v_add_nc_u64_e32 v[28:29], s[62:63], v[8:9]
	v_mov_b32_e32 v30, v0
	s_mov_b32 s72, 0
	s_branch .LBB17_42
.LBB17_41:                              ;   in Loop: Header=BB17_42 Depth=2
	v_ashrrev_i32_e32 v31, 31, v30
	v_add_nc_u64_e32 v[28:29], s[40:41], v[28:29]
	s_delay_alu instid0(VALU_DEP_2)
	v_lshl_add_u64 v[34:35], v[30:31], 3, s[56:57]
	s_wait_xcnt 0x0
	v_add_nc_u32_e32 v30, s12, v30
	s_wait_loadcnt 0x0
	global_store_b64 v[34:35], v[32:33], off
	v_cmp_le_i32_e32 vcc_lo, s15, v30
	s_or_b32 s72, vcc_lo, s72
	s_wait_xcnt 0x0
	s_and_not1_b32 exec_lo, exec_lo, s72
	s_cbranch_execz .LBB17_44
.LBB17_42:                              ;   Parent Loop BB17_4 Depth=1
                                        ; =>  This Loop Header: Depth=2
                                        ;       Child Loop BB17_43 Depth 3
	global_load_b64 v[32:33], v30, s[56:57] scale_offset
	v_mov_b64_e32 v[34:35], v[28:29]
	s_and_not1_b32 vcc_lo, exec_lo, s87
	s_mov_b32 s73, s26
	s_mov_b64 s[68:69], s[52:53]
	s_mov_b64 s[70:71], s[54:55]
	s_cbranch_vccnz .LBB17_41
.LBB17_43:                              ;   Parent Loop BB17_4 Depth=1
                                        ;     Parent Loop BB17_42 Depth=2
                                        ; =>    This Inner Loop Header: Depth=3
	s_clause 0x1
	global_load_b64 v[36:37], v1, s[70:71]
	global_load_b64 v[38:39], v1, s[68:69]
	global_load_b64 v[40:41], v[34:35], off
	s_wait_loadcnt 0x3
	v_mov_b64_e32 v[42:43], v[32:33]
	s_add_co_i32 s73, s73, -1
	s_wait_xcnt 0x2
	s_add_nc_u64 s[70:71], s[70:71], 8
	s_cmp_eq_u32 s73, 0
	s_wait_xcnt 0x1
	s_add_nc_u64 s[68:69], s[68:69], 8
	s_wait_loadcnt 0x2
	v_mul_f64_e32 v[44:45], v[42:43], v[36:37]
	s_wait_loadcnt 0x0
	v_mul_f64_e32 v[32:33], v[36:37], v[40:41]
	s_delay_alu instid0(VALU_DEP_2) | instskip(NEXT) | instid1(VALU_DEP_2)
	v_fma_f64 v[36:37], v[38:39], v[40:41], -v[44:45]
	v_fmac_f64_e32 v[32:33], v[42:43], v[38:39]
	global_store_b64 v[34:35], v[36:37], off
	s_wait_xcnt 0x0
	v_add_nc_u64_e32 v[34:35], s[42:43], v[34:35]
	s_cbranch_scc0 .LBB17_43
	s_branch .LBB17_41
.LBB17_44:                              ;   in Loop: Header=BB17_4 Depth=1
	s_or_b32 exec_lo, exec_lo, s47
.LBB17_45:                              ;   in Loop: Header=BB17_4 Depth=1
	s_mov_b32 s47, 0
.LBB17_46:                              ;   in Loop: Header=BB17_4 Depth=1
	s_delay_alu instid0(SALU_CYCLE_1)
	s_and_not1_b32 vcc_lo, exec_lo, s47
	s_cbranch_vccnz .LBB17_54
; %bb.47:                               ;   in Loop: Header=BB17_4 Depth=1
	s_and_saveexec_b32 s47, s0
	s_cbranch_execz .LBB17_53
; %bb.48:                               ;   in Loop: Header=BB17_4 Depth=1
	v_mov_b32_e32 v28, v0
	s_lshl_b64 s[68:69], s[28:29], 3
	s_mov_b32 s89, 0
	s_add_nc_u64 s[68:69], s[56:57], s[68:69]
	s_branch .LBB17_50
.LBB17_49:                              ;   in Loop: Header=BB17_50 Depth=2
	v_ashrrev_i32_e32 v29, 31, v28
	v_add_nc_u64_e32 v[24:25], s[40:41], v[24:25]
	v_add_nc_u64_e32 v[26:27], s[40:41], v[26:27]
	s_wait_xcnt 0x0
	s_delay_alu instid0(VALU_DEP_3)
	v_lshl_add_u64 v[32:33], v[28:29], 3, s[56:57]
	v_add_nc_u32_e32 v28, s12, v28
	s_wait_loadcnt 0x0
	global_store_b64 v[32:33], v[30:31], off
	v_cmp_le_i32_e32 vcc_lo, s15, v28
	s_or_b32 s89, vcc_lo, s89
	s_wait_xcnt 0x0
	s_and_not1_b32 exec_lo, exec_lo, s89
	s_cbranch_execz .LBB17_53
.LBB17_50:                              ;   Parent Loop BB17_4 Depth=1
                                        ; =>  This Loop Header: Depth=2
                                        ;       Child Loop BB17_52 Depth 3
	global_load_b64 v[30:31], v28, s[68:69] scale_offset
	s_and_not1_b32 vcc_lo, exec_lo, s87
	s_cbranch_vccnz .LBB17_49
; %bb.51:                               ;   in Loop: Header=BB17_50 Depth=2
	s_mov_b64 s[70:71], 0
	s_mov_b64 s[72:73], s[66:67]
	;; [unrolled: 1-line block ×3, first 2 shown]
	s_mov_b32 s90, s26
.LBB17_52:                              ;   Parent Loop BB17_4 Depth=1
                                        ;     Parent Loop BB17_50 Depth=2
                                        ; =>    This Inner Loop Header: Depth=3
	s_wait_xcnt 0x0
	v_add_nc_u64_e32 v[32:33], s[70:71], v[26:27]
	s_wait_loadcnt 0x0
	v_mov_b64_e32 v[38:39], v[30:31]
	s_add_co_i32 s90, s90, -1
	s_clause 0x1
	global_load_b64 v[34:35], v1, s[74:75]
	global_load_b64 v[36:37], v1, s[72:73]
	global_load_b64 v[32:33], v[32:33], off
	s_wait_xcnt 0x2
	s_add_nc_u64 s[74:75], s[74:75], -8
	s_cmp_eq_u32 s90, 0
	s_wait_xcnt 0x1
	s_add_nc_u64 s[72:73], s[72:73], -8
	s_wait_loadcnt 0x0
	v_mul_f64_e32 v[40:41], v[36:37], v[32:33]
	v_mul_f64_e32 v[30:31], v[34:35], v[32:33]
	s_wait_xcnt 0x0
	s_delay_alu instid0(VALU_DEP_2) | instskip(NEXT) | instid1(VALU_DEP_2)
	v_fma_f64 v[32:33], v[38:39], v[34:35], -v[40:41]
	v_fmac_f64_e32 v[30:31], v[38:39], v[36:37]
	v_add_nc_u64_e32 v[34:35], s[70:71], v[24:25]
	s_sub_nc_u64 s[70:71], s[70:71], s[42:43]
	global_store_b64 v[34:35], v[32:33], off
	s_cbranch_scc0 .LBB17_52
	s_branch .LBB17_49
.LBB17_53:                              ;   in Loop: Header=BB17_4 Depth=1
	s_or_b32 exec_lo, exec_lo, s47
.LBB17_54:                              ;   in Loop: Header=BB17_4 Depth=1
	s_mov_b32 s47, 0
.LBB17_55:                              ;   in Loop: Header=BB17_4 Depth=1
	s_delay_alu instid0(SALU_CYCLE_1)
	s_and_not1_b32 vcc_lo, exec_lo, s47
	s_cbranch_vccnz .LBB17_62
; %bb.56:                               ;   in Loop: Header=BB17_4 Depth=1
	s_and_saveexec_b32 s47, s0
	s_cbranch_execz .LBB17_61
; %bb.57:                               ;   in Loop: Header=BB17_4 Depth=1
	v_mov_b32_e32 v24, v0
	s_lshl_b64 s[64:65], s[28:29], 3
	s_mov_b32 s70, 0
	s_add_nc_u64 s[64:65], s[56:57], s[64:65]
	s_branch .LBB17_59
.LBB17_58:                              ;   in Loop: Header=BB17_59 Depth=2
	v_ashrrev_i32_e32 v25, 31, v24
	v_add_nc_u64_e32 v[22:23], s[40:41], v[22:23]
	s_delay_alu instid0(VALU_DEP_2)
	v_lshl_add_u64 v[28:29], v[24:25], 3, s[64:65]
	s_wait_xcnt 0x0
	v_add_nc_u32_e32 v24, s12, v24
	s_wait_loadcnt 0x0
	global_store_b64 v[28:29], v[26:27], off
	v_cmp_le_i32_e32 vcc_lo, s15, v24
	s_or_b32 s70, vcc_lo, s70
	s_wait_xcnt 0x0
	s_and_not1_b32 exec_lo, exec_lo, s70
	s_cbranch_execz .LBB17_61
.LBB17_59:                              ;   Parent Loop BB17_4 Depth=1
                                        ; =>  This Loop Header: Depth=2
                                        ;       Child Loop BB17_60 Depth 3
	global_load_b64 v[26:27], v24, s[56:57] scale_offset
	v_mov_b64_e32 v[28:29], v[22:23]
	s_and_not1_b32 vcc_lo, exec_lo, s87
	s_mov_b64 s[66:67], s[54:55]
	s_mov_b64 s[68:69], s[52:53]
	s_mov_b32 s71, s26
	s_cbranch_vccnz .LBB17_58
.LBB17_60:                              ;   Parent Loop BB17_4 Depth=1
                                        ;     Parent Loop BB17_59 Depth=2
                                        ; =>    This Inner Loop Header: Depth=3
	s_delay_alu instid0(VALU_DEP_1)
	v_add_nc_u64_e32 v[30:31], s[42:43], v[28:29]
	s_add_co_i32 s71, s71, -1
	global_load_b64 v[32:33], v[30:31], off
	s_clause 0x1
	global_load_b64 v[34:35], v1, s[66:67]
	global_load_b64 v[36:37], v1, s[68:69]
	s_wait_xcnt 0x0
	s_add_nc_u64 s[68:69], s[68:69], 8
	s_cmp_eq_u32 s71, 0
	s_add_nc_u64 s[66:67], s[66:67], 8
	s_wait_loadcnt 0x1
	v_mul_f64_e32 v[38:39], v[34:35], v[32:33]
	v_mul_f64_e32 v[34:35], v[26:27], v[34:35]
	s_wait_loadcnt 0x0
	s_delay_alu instid0(VALU_DEP_2) | instskip(NEXT) | instid1(VALU_DEP_2)
	v_fmac_f64_e32 v[38:39], v[26:27], v[36:37]
	v_fma_f64 v[26:27], v[36:37], v[32:33], -v[34:35]
	global_store_b64 v[28:29], v[38:39], off
	s_wait_xcnt 0x0
	v_mov_b64_e32 v[28:29], v[30:31]
	s_cbranch_scc0 .LBB17_60
	s_branch .LBB17_58
.LBB17_61:                              ;   in Loop: Header=BB17_4 Depth=1
	s_or_b32 exec_lo, exec_lo, s47
.LBB17_62:                              ;   in Loop: Header=BB17_4 Depth=1
	s_mov_b32 s47, 0
.LBB17_63:                              ;   in Loop: Header=BB17_4 Depth=1
	s_delay_alu instid0(SALU_CYCLE_1)
	s_and_not1_b32 vcc_lo, exec_lo, s47
	s_cbranch_vccnz .LBB17_70
; %bb.64:                               ;   in Loop: Header=BB17_4 Depth=1
	s_and_saveexec_b32 s47, s1
	s_cbranch_execz .LBB17_69
; %bb.65:                               ;   in Loop: Header=BB17_4 Depth=1
	v_add_nc_u64_e32 v[22:23], s[62:63], v[12:13]
	v_mov_b32_e32 v24, v0
	s_lshl_b64 s[64:65], s[30:31], 3
	s_mov_b32 s70, 0
	s_add_nc_u64 s[64:65], s[56:57], s[64:65]
	s_branch .LBB17_67
.LBB17_66:                              ;   in Loop: Header=BB17_67 Depth=2
	v_add_nc_u32_e32 v24, s12, v24
	v_add_nc_u64_e32 v[22:23], s[50:51], v[22:23]
	s_wait_loadcnt 0x0
	global_store_b64 v[26:27], v[28:29], off offset:-8
	v_cmp_le_i32_e32 vcc_lo, s23, v24
	s_or_b32 s70, vcc_lo, s70
	s_wait_xcnt 0x0
	s_and_not1_b32 exec_lo, exec_lo, s70
	s_cbranch_execz .LBB17_69
.LBB17_67:                              ;   Parent Loop BB17_4 Depth=1
                                        ; =>  This Loop Header: Depth=2
                                        ;       Child Loop BB17_68 Depth 3
	v_ashrrev_i32_e32 v25, 31, v24
	v_mov_b64_e32 v[30:31], v[22:23]
	s_and_not1_b32 vcc_lo, exec_lo, s88
	s_mov_b64 s[66:67], s[60:61]
	s_mov_b64 s[68:69], s[58:59]
	v_mul_u64_e32 v[26:27], s[20:21], v[24:25]
	s_mov_b32 s71, s46
	s_delay_alu instid0(VALU_DEP_1)
	v_lshl_add_u64 v[26:27], v[26:27], 3, s[64:65]
	global_load_b64 v[28:29], v[26:27], off offset:-8
	s_cbranch_vccnz .LBB17_66
.LBB17_68:                              ;   Parent Loop BB17_4 Depth=1
                                        ;     Parent Loop BB17_67 Depth=2
                                        ; =>    This Inner Loop Header: Depth=3
	global_load_b64 v[32:33], v[30:31], off
	s_clause 0x1
	global_load_b64 v[34:35], v1, s[68:69]
	global_load_b64 v[36:37], v1, s[66:67]
	s_add_co_i32 s71, s71, -1
	s_wait_xcnt 0x1
	s_add_nc_u64 s[68:69], s[68:69], -8
	s_cmp_eq_u32 s71, 0
	s_wait_xcnt 0x0
	s_add_nc_u64 s[66:67], s[66:67], -8
	s_wait_loadcnt 0x1
	v_mul_f64_e32 v[38:39], v[34:35], v[32:33]
	s_wait_loadcnt 0x0
	v_mul_f64_e32 v[32:33], v[36:37], v[32:33]
	s_delay_alu instid0(VALU_DEP_2) | instskip(NEXT) | instid1(VALU_DEP_2)
	v_fmac_f64_e32 v[38:39], v[28:29], v[36:37]
	v_fma_f64 v[28:29], v[28:29], v[34:35], -v[32:33]
	global_store_b64 v[30:31], v[38:39], off
	s_wait_xcnt 0x0
	v_add_nc_u64_e32 v[30:31], -8, v[30:31]
	s_cbranch_scc0 .LBB17_68
	s_branch .LBB17_66
.LBB17_69:                              ;   in Loop: Header=BB17_4 Depth=1
	s_or_b32 exec_lo, exec_lo, s47
.LBB17_70:                              ;   in Loop: Header=BB17_4 Depth=1
	s_mov_b32 s47, 0
.LBB17_71:                              ;   in Loop: Header=BB17_4 Depth=1
	s_delay_alu instid0(SALU_CYCLE_1)
	s_and_not1_b32 vcc_lo, exec_lo, s47
	s_cbranch_vccnz .LBB17_78
; %bb.72:                               ;   in Loop: Header=BB17_4 Depth=1
	s_and_saveexec_b32 s47, s1
	s_cbranch_execz .LBB17_77
; %bb.73:                               ;   in Loop: Header=BB17_4 Depth=1
	v_add_nc_u64_e32 v[22:23], s[62:63], v[10:11]
	v_mov_b32_e32 v24, v0
	s_lshl_b64 s[64:65], s[30:31], 3
	s_mov_b32 s70, 0
	s_add_nc_u64 s[64:65], s[56:57], s[64:65]
	s_branch .LBB17_75
.LBB17_74:                              ;   in Loop: Header=BB17_75 Depth=2
	v_add_nc_u32_e32 v24, s12, v24
	v_add_nc_u64_e32 v[22:23], s[50:51], v[22:23]
	s_wait_loadcnt 0x0
	global_store_b64 v[26:27], v[28:29], off offset:-8
	v_cmp_le_i32_e32 vcc_lo, s23, v24
	s_or_b32 s70, vcc_lo, s70
	s_wait_xcnt 0x0
	s_and_not1_b32 exec_lo, exec_lo, s70
	s_cbranch_execz .LBB17_77
.LBB17_75:                              ;   Parent Loop BB17_4 Depth=1
                                        ; =>  This Loop Header: Depth=2
                                        ;       Child Loop BB17_76 Depth 3
	v_ashrrev_i32_e32 v25, 31, v24
	v_mov_b64_e32 v[30:31], v[22:23]
	s_and_not1_b32 vcc_lo, exec_lo, s88
	s_mov_b64 s[66:67], s[54:55]
	s_mov_b64 s[68:69], s[52:53]
	v_mul_u64_e32 v[26:27], s[20:21], v[24:25]
	s_mov_b32 s71, s46
	s_delay_alu instid0(VALU_DEP_1)
	v_lshl_add_u64 v[26:27], v[26:27], 3, s[64:65]
	global_load_b64 v[28:29], v[26:27], off offset:-8
	s_cbranch_vccnz .LBB17_74
.LBB17_76:                              ;   Parent Loop BB17_4 Depth=1
                                        ;     Parent Loop BB17_75 Depth=2
                                        ; =>    This Inner Loop Header: Depth=3
	global_load_b64 v[32:33], v[30:31], off
	s_clause 0x1
	global_load_b64 v[34:35], v1, s[68:69]
	global_load_b64 v[36:37], v1, s[66:67]
	s_add_co_i32 s71, s71, -1
	s_wait_xcnt 0x1
	s_add_nc_u64 s[68:69], s[68:69], 8
	s_cmp_eq_u32 s71, 0
	s_wait_xcnt 0x0
	s_add_nc_u64 s[66:67], s[66:67], 8
	s_wait_loadcnt 0x1
	v_mul_f64_e32 v[38:39], v[34:35], v[32:33]
	s_wait_loadcnt 0x0
	v_mul_f64_e32 v[32:33], v[36:37], v[32:33]
	s_delay_alu instid0(VALU_DEP_2) | instskip(NEXT) | instid1(VALU_DEP_2)
	v_fmac_f64_e32 v[38:39], v[28:29], v[36:37]
	v_fma_f64 v[28:29], v[28:29], v[34:35], -v[32:33]
	global_store_b64 v[30:31], v[38:39], off
	s_wait_xcnt 0x0
	v_add_nc_u64_e32 v[30:31], 8, v[30:31]
	s_cbranch_scc0 .LBB17_76
	s_branch .LBB17_74
.LBB17_77:                              ;   in Loop: Header=BB17_4 Depth=1
	s_or_b32 exec_lo, exec_lo, s47
.LBB17_78:                              ;   in Loop: Header=BB17_4 Depth=1
	s_mov_b32 s47, 0
.LBB17_79:                              ;   in Loop: Header=BB17_4 Depth=1
	s_delay_alu instid0(SALU_CYCLE_1)
	s_and_not1_b32 vcc_lo, exec_lo, s47
	s_cbranch_vccnz .LBB17_86
; %bb.80:                               ;   in Loop: Header=BB17_4 Depth=1
	s_and_saveexec_b32 s47, s1
	s_cbranch_execz .LBB17_85
; %bb.81:                               ;   in Loop: Header=BB17_4 Depth=1
	v_add_nc_u64_e32 v[22:23], s[62:63], v[14:15]
	v_mov_b32_e32 v24, v0
	s_mov_b32 s68, 0
	s_branch .LBB17_83
.LBB17_82:                              ;   in Loop: Header=BB17_83 Depth=2
	v_add_nc_u32_e32 v24, s12, v24
	v_add_nc_u64_e32 v[22:23], s[50:51], v[22:23]
	s_wait_loadcnt 0x0
	global_store_b64 v[26:27], v[28:29], off
	v_cmp_le_i32_e32 vcc_lo, s23, v24
	s_or_b32 s68, vcc_lo, s68
	s_wait_xcnt 0x0
	s_and_not1_b32 exec_lo, exec_lo, s68
	s_cbranch_execz .LBB17_85
.LBB17_83:                              ;   Parent Loop BB17_4 Depth=1
                                        ; =>  This Loop Header: Depth=2
                                        ;       Child Loop BB17_84 Depth 3
	s_delay_alu instid0(VALU_DEP_1) | instskip(NEXT) | instid1(VALU_DEP_3)
	v_ashrrev_i32_e32 v25, 31, v24
	v_mov_b64_e32 v[30:31], v[22:23]
	s_and_not1_b32 vcc_lo, exec_lo, s88
	s_mov_b64 s[64:65], s[60:61]
	s_mov_b64 s[66:67], s[58:59]
	v_mul_u64_e32 v[26:27], s[20:21], v[24:25]
	s_mov_b32 s69, s13
	s_delay_alu instid0(VALU_DEP_1)
	v_lshl_add_u64 v[26:27], v[26:27], 3, s[56:57]
	global_load_b64 v[28:29], v[26:27], off
	s_cbranch_vccnz .LBB17_82
.LBB17_84:                              ;   Parent Loop BB17_4 Depth=1
                                        ;     Parent Loop BB17_83 Depth=2
                                        ; =>    This Inner Loop Header: Depth=3
	s_clause 0x1
	global_load_b64 v[32:33], v1, s[64:65]
	global_load_b64 v[34:35], v1, s[66:67]
	global_load_b64 v[36:37], v[30:31], off
	s_wait_loadcnt 0x3
	v_mov_b64_e32 v[38:39], v[28:29]
	s_add_co_i32 s69, s69, -1
	s_wait_xcnt 0x1
	s_add_nc_u64 s[66:67], s[66:67], -8
	s_cmp_lt_u32 s69, 3
	s_add_nc_u64 s[64:65], s[64:65], -8
	s_wait_loadcnt 0x2
	v_mul_f64_e32 v[40:41], v[38:39], v[32:33]
	s_wait_loadcnt 0x0
	v_mul_f64_e32 v[28:29], v[32:33], v[36:37]
	s_delay_alu instid0(VALU_DEP_2) | instskip(NEXT) | instid1(VALU_DEP_2)
	v_fma_f64 v[32:33], v[34:35], v[36:37], -v[40:41]
	v_fmac_f64_e32 v[28:29], v[38:39], v[34:35]
	global_store_b64 v[30:31], v[32:33], off
	s_wait_xcnt 0x0
	v_add_nc_u64_e32 v[30:31], -8, v[30:31]
	s_cbranch_scc0 .LBB17_84
	s_branch .LBB17_82
.LBB17_85:                              ;   in Loop: Header=BB17_4 Depth=1
	s_or_b32 exec_lo, exec_lo, s47
.LBB17_86:                              ;   in Loop: Header=BB17_4 Depth=1
	s_mov_b32 s47, 0
.LBB17_87:                              ;   in Loop: Header=BB17_4 Depth=1
	s_delay_alu instid0(SALU_CYCLE_1)
	s_and_not1_b32 vcc_lo, exec_lo, s47
	s_cbranch_vccnz .LBB17_94
; %bb.88:                               ;   in Loop: Header=BB17_4 Depth=1
	s_and_saveexec_b32 s47, s1
	s_cbranch_execz .LBB17_93
; %bb.89:                               ;   in Loop: Header=BB17_4 Depth=1
	v_mov_b64_e32 v[22:23], v[20:21]
	v_mov_b32_e32 v24, v0
	s_mov_b32 s68, 0
	s_branch .LBB17_91
.LBB17_90:                              ;   in Loop: Header=BB17_91 Depth=2
	v_add_nc_u32_e32 v24, s12, v24
	v_add_nc_u64_e32 v[22:23], s[50:51], v[22:23]
	s_wait_loadcnt 0x0
	global_store_b64 v[26:27], v[28:29], off
	v_cmp_le_i32_e32 vcc_lo, s23, v24
	s_or_b32 s68, vcc_lo, s68
	s_wait_xcnt 0x0
	s_and_not1_b32 exec_lo, exec_lo, s68
	s_cbranch_execz .LBB17_93
.LBB17_91:                              ;   Parent Loop BB17_4 Depth=1
                                        ; =>  This Loop Header: Depth=2
                                        ;       Child Loop BB17_92 Depth 3
	s_delay_alu instid0(VALU_DEP_1) | instskip(NEXT) | instid1(VALU_DEP_3)
	v_ashrrev_i32_e32 v25, 31, v24
	v_mov_b64_e32 v[30:31], v[22:23]
	s_and_not1_b32 vcc_lo, exec_lo, s88
	s_mov_b32 s69, s46
	s_mov_b64 s[64:65], s[52:53]
	v_mul_u64_e32 v[26:27], s[20:21], v[24:25]
	s_mov_b64 s[66:67], s[54:55]
	s_delay_alu instid0(VALU_DEP_1)
	v_lshl_add_u64 v[26:27], v[26:27], 3, s[56:57]
	global_load_b64 v[28:29], v[26:27], off
	s_cbranch_vccnz .LBB17_90
.LBB17_92:                              ;   Parent Loop BB17_4 Depth=1
                                        ;     Parent Loop BB17_91 Depth=2
                                        ; =>    This Inner Loop Header: Depth=3
	s_clause 0x1
	global_load_b64 v[32:33], v1, s[66:67]
	global_load_b64 v[34:35], v1, s[64:65]
	global_load_b64 v[36:37], v[30:31], off
	s_wait_loadcnt 0x3
	v_mov_b64_e32 v[38:39], v[28:29]
	s_add_co_i32 s69, s69, -1
	s_wait_xcnt 0x2
	s_add_nc_u64 s[66:67], s[66:67], 8
	s_cmp_eq_u32 s69, 0
	s_wait_xcnt 0x1
	s_add_nc_u64 s[64:65], s[64:65], 8
	s_wait_loadcnt 0x2
	v_mul_f64_e32 v[40:41], v[38:39], v[32:33]
	s_wait_loadcnt 0x0
	v_mul_f64_e32 v[28:29], v[32:33], v[36:37]
	s_delay_alu instid0(VALU_DEP_2) | instskip(NEXT) | instid1(VALU_DEP_2)
	v_fma_f64 v[32:33], v[34:35], v[36:37], -v[40:41]
	v_fmac_f64_e32 v[28:29], v[38:39], v[34:35]
	global_store_b64 v[30:31], v[32:33], off
	s_wait_xcnt 0x0
	v_add_nc_u64_e32 v[30:31], 8, v[30:31]
	s_cbranch_scc0 .LBB17_92
	s_branch .LBB17_90
.LBB17_93:                              ;   in Loop: Header=BB17_4 Depth=1
	s_or_b32 exec_lo, exec_lo, s47
.LBB17_94:                              ;   in Loop: Header=BB17_4 Depth=1
	s_mov_b32 s47, 0
.LBB17_95:                              ;   in Loop: Header=BB17_4 Depth=1
	s_delay_alu instid0(SALU_CYCLE_1)
	s_and_not1_b32 vcc_lo, exec_lo, s47
	s_cbranch_vccnz .LBB17_102
; %bb.96:                               ;   in Loop: Header=BB17_4 Depth=1
	s_and_saveexec_b32 s47, s1
	s_cbranch_execz .LBB17_101
; %bb.97:                               ;   in Loop: Header=BB17_4 Depth=1
	v_add_nc_u64_e32 v[22:23], s[62:63], v[18:19]
	v_mov_b32_e32 v24, v0
	s_lshl_b64 s[62:63], s[30:31], 3
	s_mov_b32 s68, 0
	s_add_nc_u64 s[62:63], s[56:57], s[62:63]
	s_branch .LBB17_99
.LBB17_98:                              ;   in Loop: Header=BB17_99 Depth=2
	v_add_nc_u32_e32 v24, s12, v24
	v_add_nc_u64_e32 v[22:23], s[50:51], v[22:23]
	v_lshl_add_u64 v[26:27], v[26:27], 3, s[56:57]
	s_delay_alu instid0(VALU_DEP_3)
	v_cmp_le_i32_e32 vcc_lo, s23, v24
	s_wait_loadcnt 0x0
	global_store_b64 v[26:27], v[28:29], off
	s_or_b32 s68, vcc_lo, s68
	s_wait_xcnt 0x0
	s_and_not1_b32 exec_lo, exec_lo, s68
	s_cbranch_execz .LBB17_101
.LBB17_99:                              ;   Parent Loop BB17_4 Depth=1
                                        ; =>  This Loop Header: Depth=2
                                        ;       Child Loop BB17_100 Depth 3
	v_ashrrev_i32_e32 v25, 31, v24
	v_mov_b64_e32 v[30:31], v[22:23]
	s_and_not1_b32 vcc_lo, exec_lo, s88
	s_mov_b64 s[64:65], s[60:61]
	s_mov_b64 s[66:67], s[58:59]
	v_mul_u64_e32 v[26:27], s[20:21], v[24:25]
	s_mov_b32 s69, s46
	s_delay_alu instid0(VALU_DEP_1)
	v_lshl_add_u64 v[28:29], v[26:27], 3, s[62:63]
	global_load_b64 v[28:29], v[28:29], off offset:-8
	s_cbranch_vccnz .LBB17_98
.LBB17_100:                             ;   Parent Loop BB17_4 Depth=1
                                        ;     Parent Loop BB17_99 Depth=2
                                        ; =>    This Inner Loop Header: Depth=3
	global_load_b64 v[32:33], v[30:31], off offset:-8
	s_clause 0x1
	global_load_b64 v[34:35], v1, s[64:65]
	global_load_b64 v[36:37], v1, s[66:67]
	s_wait_loadcnt 0x3
	v_mov_b64_e32 v[40:41], v[28:29]
	s_add_co_i32 s69, s69, -1
	s_wait_xcnt 0x0
	s_add_nc_u64 s[66:67], s[66:67], -8
	s_cmp_eq_u32 s69, 0
	s_add_nc_u64 s[64:65], s[64:65], -8
	s_wait_loadcnt 0x1
	v_mul_f64_e32 v[38:39], v[34:35], v[32:33]
	s_wait_loadcnt 0x0
	v_mul_f64_e32 v[28:29], v[36:37], v[32:33]
	s_delay_alu instid0(VALU_DEP_2) | instskip(NEXT) | instid1(VALU_DEP_2)
	v_fma_f64 v[32:33], v[40:41], v[36:37], -v[38:39]
	v_fmac_f64_e32 v[28:29], v[40:41], v[34:35]
	v_add_nc_u64_e32 v[34:35], -8, v[30:31]
	global_store_b64 v[30:31], v[32:33], off
	s_wait_xcnt 0x0
	v_mov_b64_e32 v[30:31], v[34:35]
	s_cbranch_scc0 .LBB17_100
	s_branch .LBB17_98
.LBB17_101:                             ;   in Loop: Header=BB17_4 Depth=1
	s_or_b32 exec_lo, exec_lo, s47
.LBB17_102:                             ;   in Loop: Header=BB17_4 Depth=1
	s_cbranch_execnz .LBB17_3
.LBB17_103:                             ;   in Loop: Header=BB17_4 Depth=1
	s_and_saveexec_b32 s47, s1
	s_cbranch_execz .LBB17_2
; %bb.104:                              ;   in Loop: Header=BB17_4 Depth=1
	v_mov_b32_e32 v22, v0
	s_lshl_b64 s[58:59], s[30:31], 3
	s_mov_b32 s64, 0
	s_add_nc_u64 s[58:59], s[56:57], s[58:59]
	s_branch .LBB17_106
.LBB17_105:                             ;   in Loop: Header=BB17_106 Depth=2
	v_add_nc_u32_e32 v22, s12, v22
	v_add_nc_u64_e32 v[20:21], s[50:51], v[20:21]
	v_lshl_add_u64 v[24:25], v[24:25], 3, s[58:59]
	s_delay_alu instid0(VALU_DEP_3)
	v_cmp_le_i32_e32 vcc_lo, s23, v22
	s_wait_loadcnt 0x0
	global_store_b64 v[24:25], v[26:27], off offset:-8
	s_or_b32 s64, vcc_lo, s64
	s_wait_xcnt 0x0
	s_and_not1_b32 exec_lo, exec_lo, s64
	s_cbranch_execz .LBB17_2
.LBB17_106:                             ;   Parent Loop BB17_4 Depth=1
                                        ; =>  This Loop Header: Depth=2
                                        ;       Child Loop BB17_107 Depth 3
	v_ashrrev_i32_e32 v23, 31, v22
	v_mov_b64_e32 v[28:29], v[20:21]
	s_and_not1_b32 vcc_lo, exec_lo, s88
	s_mov_b64 s[60:61], s[54:55]
	s_mov_b64 s[62:63], s[52:53]
	v_mul_u64_e32 v[24:25], s[20:21], v[22:23]
	s_mov_b32 s65, s46
	s_delay_alu instid0(VALU_DEP_1)
	v_lshl_add_u64 v[26:27], v[24:25], 3, s[56:57]
	global_load_b64 v[26:27], v[26:27], off
	s_cbranch_vccnz .LBB17_105
.LBB17_107:                             ;   Parent Loop BB17_4 Depth=1
                                        ;     Parent Loop BB17_106 Depth=2
                                        ; =>    This Inner Loop Header: Depth=3
	global_load_b64 v[30:31], v[28:29], off
	s_clause 0x1
	global_load_b64 v[32:33], v1, s[60:61]
	global_load_b64 v[34:35], v1, s[62:63]
	s_add_co_i32 s65, s65, -1
	s_wait_xcnt 0x0
	s_add_nc_u64 s[62:63], s[62:63], 8
	s_cmp_eq_u32 s65, 0
	s_add_nc_u64 s[60:61], s[60:61], 8
	s_wait_loadcnt 0x1
	v_mul_f64_e32 v[36:37], v[32:33], v[30:31]
	v_mul_f64_e32 v[32:33], v[26:27], v[32:33]
	s_wait_loadcnt 0x0
	s_delay_alu instid0(VALU_DEP_2) | instskip(NEXT) | instid1(VALU_DEP_2)
	v_fmac_f64_e32 v[36:37], v[26:27], v[34:35]
	v_fma_f64 v[26:27], v[34:35], v[30:31], -v[32:33]
	global_store_b64 v[28:29], v[36:37], off offset:-8
	s_wait_xcnt 0x0
	v_add_nc_u64_e32 v[28:29], 8, v[28:29]
	s_cbranch_scc0 .LBB17_107
	s_branch .LBB17_105
.LBB17_108:
	s_endpgm
	.section	.rodata,"a",@progbits
	.p2align	6, 0x0
	.amdhsa_kernel _ZN9rocsolver6v33100L11lasr_kernelIddPdiEEv13rocblas_side_14rocblas_pivot_15rocblas_direct_T2_S6_PT0_lS8_lT1_lS6_lS6_
		.amdhsa_group_segment_fixed_size 0
		.amdhsa_private_segment_fixed_size 0
		.amdhsa_kernarg_size 352
		.amdhsa_user_sgpr_count 2
		.amdhsa_user_sgpr_dispatch_ptr 0
		.amdhsa_user_sgpr_queue_ptr 0
		.amdhsa_user_sgpr_kernarg_segment_ptr 1
		.amdhsa_user_sgpr_dispatch_id 0
		.amdhsa_user_sgpr_kernarg_preload_length 0
		.amdhsa_user_sgpr_kernarg_preload_offset 0
		.amdhsa_user_sgpr_private_segment_size 0
		.amdhsa_wavefront_size32 1
		.amdhsa_uses_dynamic_stack 0
		.amdhsa_enable_private_segment 0
		.amdhsa_system_sgpr_workgroup_id_x 1
		.amdhsa_system_sgpr_workgroup_id_y 0
		.amdhsa_system_sgpr_workgroup_id_z 1
		.amdhsa_system_sgpr_workgroup_info 0
		.amdhsa_system_vgpr_workitem_id 0
		.amdhsa_next_free_vgpr 46
		.amdhsa_next_free_sgpr 91
		.amdhsa_named_barrier_count 0
		.amdhsa_reserve_vcc 1
		.amdhsa_float_round_mode_32 0
		.amdhsa_float_round_mode_16_64 0
		.amdhsa_float_denorm_mode_32 3
		.amdhsa_float_denorm_mode_16_64 3
		.amdhsa_fp16_overflow 0
		.amdhsa_memory_ordered 1
		.amdhsa_forward_progress 1
		.amdhsa_inst_pref_size 33
		.amdhsa_round_robin_scheduling 0
		.amdhsa_exception_fp_ieee_invalid_op 0
		.amdhsa_exception_fp_denorm_src 0
		.amdhsa_exception_fp_ieee_div_zero 0
		.amdhsa_exception_fp_ieee_overflow 0
		.amdhsa_exception_fp_ieee_underflow 0
		.amdhsa_exception_fp_ieee_inexact 0
		.amdhsa_exception_int_div_zero 0
	.end_amdhsa_kernel
	.section	.text._ZN9rocsolver6v33100L11lasr_kernelIddPdiEEv13rocblas_side_14rocblas_pivot_15rocblas_direct_T2_S6_PT0_lS8_lT1_lS6_lS6_,"axG",@progbits,_ZN9rocsolver6v33100L11lasr_kernelIddPdiEEv13rocblas_side_14rocblas_pivot_15rocblas_direct_T2_S6_PT0_lS8_lT1_lS6_lS6_,comdat
.Lfunc_end17:
	.size	_ZN9rocsolver6v33100L11lasr_kernelIddPdiEEv13rocblas_side_14rocblas_pivot_15rocblas_direct_T2_S6_PT0_lS8_lT1_lS6_lS6_, .Lfunc_end17-_ZN9rocsolver6v33100L11lasr_kernelIddPdiEEv13rocblas_side_14rocblas_pivot_15rocblas_direct_T2_S6_PT0_lS8_lT1_lS6_lS6_
                                        ; -- End function
	.set _ZN9rocsolver6v33100L11lasr_kernelIddPdiEEv13rocblas_side_14rocblas_pivot_15rocblas_direct_T2_S6_PT0_lS8_lT1_lS6_lS6_.num_vgpr, 46
	.set _ZN9rocsolver6v33100L11lasr_kernelIddPdiEEv13rocblas_side_14rocblas_pivot_15rocblas_direct_T2_S6_PT0_lS8_lT1_lS6_lS6_.num_agpr, 0
	.set _ZN9rocsolver6v33100L11lasr_kernelIddPdiEEv13rocblas_side_14rocblas_pivot_15rocblas_direct_T2_S6_PT0_lS8_lT1_lS6_lS6_.numbered_sgpr, 91
	.set _ZN9rocsolver6v33100L11lasr_kernelIddPdiEEv13rocblas_side_14rocblas_pivot_15rocblas_direct_T2_S6_PT0_lS8_lT1_lS6_lS6_.num_named_barrier, 0
	.set _ZN9rocsolver6v33100L11lasr_kernelIddPdiEEv13rocblas_side_14rocblas_pivot_15rocblas_direct_T2_S6_PT0_lS8_lT1_lS6_lS6_.private_seg_size, 0
	.set _ZN9rocsolver6v33100L11lasr_kernelIddPdiEEv13rocblas_side_14rocblas_pivot_15rocblas_direct_T2_S6_PT0_lS8_lT1_lS6_lS6_.uses_vcc, 1
	.set _ZN9rocsolver6v33100L11lasr_kernelIddPdiEEv13rocblas_side_14rocblas_pivot_15rocblas_direct_T2_S6_PT0_lS8_lT1_lS6_lS6_.uses_flat_scratch, 0
	.set _ZN9rocsolver6v33100L11lasr_kernelIddPdiEEv13rocblas_side_14rocblas_pivot_15rocblas_direct_T2_S6_PT0_lS8_lT1_lS6_lS6_.has_dyn_sized_stack, 0
	.set _ZN9rocsolver6v33100L11lasr_kernelIddPdiEEv13rocblas_side_14rocblas_pivot_15rocblas_direct_T2_S6_PT0_lS8_lT1_lS6_lS6_.has_recursion, 0
	.set _ZN9rocsolver6v33100L11lasr_kernelIddPdiEEv13rocblas_side_14rocblas_pivot_15rocblas_direct_T2_S6_PT0_lS8_lT1_lS6_lS6_.has_indirect_call, 0
	.section	.AMDGPU.csdata,"",@progbits
; Kernel info:
; codeLenInByte = 4192
; TotalNumSgprs: 93
; NumVgprs: 46
; ScratchSize: 0
; MemoryBound: 0
; FloatMode: 240
; IeeeMode: 1
; LDSByteSize: 0 bytes/workgroup (compile time only)
; SGPRBlocks: 0
; VGPRBlocks: 2
; NumSGPRsForWavesPerEU: 93
; NumVGPRsForWavesPerEU: 46
; NamedBarCnt: 0
; Occupancy: 16
; WaveLimiterHint : 0
; COMPUTE_PGM_RSRC2:SCRATCH_EN: 0
; COMPUTE_PGM_RSRC2:USER_SGPR: 2
; COMPUTE_PGM_RSRC2:TRAP_HANDLER: 0
; COMPUTE_PGM_RSRC2:TGID_X_EN: 1
; COMPUTE_PGM_RSRC2:TGID_Y_EN: 0
; COMPUTE_PGM_RSRC2:TGID_Z_EN: 1
; COMPUTE_PGM_RSRC2:TIDIG_COMP_CNT: 0
	.section	.text._ZN9rocsolver6v33100L11scal_kernelIddiEEvT1_T_PT0_S2_,"axG",@progbits,_ZN9rocsolver6v33100L11scal_kernelIddiEEvT1_T_PT0_S2_,comdat
	.globl	_ZN9rocsolver6v33100L11scal_kernelIddiEEvT1_T_PT0_S2_ ; -- Begin function _ZN9rocsolver6v33100L11scal_kernelIddiEEvT1_T_PT0_S2_
	.p2align	8
	.type	_ZN9rocsolver6v33100L11scal_kernelIddiEEvT1_T_PT0_S2_,@function
_ZN9rocsolver6v33100L11scal_kernelIddiEEvT1_T_PT0_S2_: ; @_ZN9rocsolver6v33100L11scal_kernelIddiEEvT1_T_PT0_S2_
; %bb.0:
	s_load_b32 s10, s[0:1], 0x0
	s_wait_kmcnt 0x0
	s_cmp_lt_i32 s10, 1
	s_cbranch_scc1 .LBB18_10
; %bb.1:
	s_clause 0x3
	s_load_b32 s2, s[0:1], 0x2c
	s_load_b128 s[4:7], s[0:1], 0x8
	s_load_b32 s8, s[0:1], 0x18
	s_load_b32 s3, s[0:1], 0x20
	s_wait_xcnt 0x0
	s_bfe_u32 s0, ttmp6, 0x4000c
	s_and_b32 s1, ttmp6, 15
	s_add_co_i32 s0, s0, 1
	s_getreg_b32 s9, hwreg(HW_REG_IB_STS2, 6, 4)
	s_mul_i32 s0, ttmp9, s0
	s_delay_alu instid0(SALU_CYCLE_1)
	s_add_co_i32 s1, s1, s0
	s_wait_kmcnt 0x0
	s_and_b32 s2, s2, 0xffff
	s_cmp_eq_u32 s9, 0
	s_cselect_b32 s0, ttmp9, s1
	s_cmp_eq_u32 s8, 1
	v_mad_u32 v0, s0, s2, v0
	s_mul_i32 s2, s3, s2
	s_mov_b32 s1, -1
	s_delay_alu instid0(VALU_DEP_1)
	v_cmp_gt_i32_e64 s0, s10, v0
	s_cbranch_scc1 .LBB18_6
; %bb.2:
	s_and_saveexec_b32 s1, s0
	s_cbranch_execz .LBB18_5
; %bb.3:
	v_ashrrev_i32_e32 v1, 31, v0
	s_ashr_i32 s9, s8, 31
	s_ashr_i32 s3, s2, 31
	s_delay_alu instid0(VALU_DEP_1) | instskip(SKIP_4) | instid1(VALU_DEP_2)
	v_mul_u64_e32 v[2:3], s[8:9], v[0:1]
	v_mov_b32_e32 v1, v0
	s_mul_u64 s[8:9], s[8:9], s[2:3]
	s_mov_b32 s3, 0
	s_lshl_b64 s[8:9], s[8:9], 3
	v_lshl_add_u64 v[2:3], v[2:3], 3, s[6:7]
.LBB18_4:                               ; =>This Inner Loop Header: Depth=1
	global_load_b64 v[4:5], v[2:3], off
	v_add_nc_u32_e32 v1, s2, v1
	s_delay_alu instid0(VALU_DEP_1)
	v_cmp_le_i32_e32 vcc_lo, s10, v1
	s_or_b32 s3, vcc_lo, s3
	s_wait_loadcnt 0x0
	v_mul_f64_e32 v[4:5], s[4:5], v[4:5]
	global_store_b64 v[2:3], v[4:5], off
	s_wait_xcnt 0x0
	v_add_nc_u64_e32 v[2:3], s[8:9], v[2:3]
	s_and_not1_b32 exec_lo, exec_lo, s3
	s_cbranch_execnz .LBB18_4
.LBB18_5:
	s_or_b32 exec_lo, exec_lo, s1
	s_mov_b32 s1, 0
.LBB18_6:
	s_delay_alu instid0(SALU_CYCLE_1)
	s_and_not1_b32 vcc_lo, exec_lo, s1
	s_cbranch_vccnz .LBB18_10
; %bb.7:
	s_and_saveexec_b32 s1, s0
	s_cbranch_execz .LBB18_10
; %bb.8:
	v_ashrrev_i32_e32 v1, 31, v0
	s_ashr_i32 s3, s2, 31
	s_delay_alu instid0(SALU_CYCLE_1) | instskip(SKIP_1) | instid1(VALU_DEP_1)
	s_lshl_b64 s[0:1], s[2:3], 3
	s_mov_b32 s3, 0
	v_lshl_add_u64 v[2:3], v[0:1], 3, s[6:7]
.LBB18_9:                               ; =>This Inner Loop Header: Depth=1
	global_load_b64 v[4:5], v[2:3], off
	v_add_nc_u32_e32 v0, s2, v0
	s_delay_alu instid0(VALU_DEP_1)
	v_cmp_le_i32_e32 vcc_lo, s10, v0
	s_or_b32 s3, vcc_lo, s3
	s_wait_loadcnt 0x0
	v_mul_f64_e32 v[4:5], s[4:5], v[4:5]
	global_store_b64 v[2:3], v[4:5], off
	s_wait_xcnt 0x0
	v_add_nc_u64_e32 v[2:3], s[0:1], v[2:3]
	s_and_not1_b32 exec_lo, exec_lo, s3
	s_cbranch_execnz .LBB18_9
.LBB18_10:
	s_endpgm
	.section	.rodata,"a",@progbits
	.p2align	6, 0x0
	.amdhsa_kernel _ZN9rocsolver6v33100L11scal_kernelIddiEEvT1_T_PT0_S2_
		.amdhsa_group_segment_fixed_size 0
		.amdhsa_private_segment_fixed_size 0
		.amdhsa_kernarg_size 288
		.amdhsa_user_sgpr_count 2
		.amdhsa_user_sgpr_dispatch_ptr 0
		.amdhsa_user_sgpr_queue_ptr 0
		.amdhsa_user_sgpr_kernarg_segment_ptr 1
		.amdhsa_user_sgpr_dispatch_id 0
		.amdhsa_user_sgpr_kernarg_preload_length 0
		.amdhsa_user_sgpr_kernarg_preload_offset 0
		.amdhsa_user_sgpr_private_segment_size 0
		.amdhsa_wavefront_size32 1
		.amdhsa_uses_dynamic_stack 0
		.amdhsa_enable_private_segment 0
		.amdhsa_system_sgpr_workgroup_id_x 1
		.amdhsa_system_sgpr_workgroup_id_y 0
		.amdhsa_system_sgpr_workgroup_id_z 0
		.amdhsa_system_sgpr_workgroup_info 0
		.amdhsa_system_vgpr_workitem_id 0
		.amdhsa_next_free_vgpr 6
		.amdhsa_next_free_sgpr 11
		.amdhsa_named_barrier_count 0
		.amdhsa_reserve_vcc 1
		.amdhsa_float_round_mode_32 0
		.amdhsa_float_round_mode_16_64 0
		.amdhsa_float_denorm_mode_32 3
		.amdhsa_float_denorm_mode_16_64 3
		.amdhsa_fp16_overflow 0
		.amdhsa_memory_ordered 1
		.amdhsa_forward_progress 1
		.amdhsa_inst_pref_size 4
		.amdhsa_round_robin_scheduling 0
		.amdhsa_exception_fp_ieee_invalid_op 0
		.amdhsa_exception_fp_denorm_src 0
		.amdhsa_exception_fp_ieee_div_zero 0
		.amdhsa_exception_fp_ieee_overflow 0
		.amdhsa_exception_fp_ieee_underflow 0
		.amdhsa_exception_fp_ieee_inexact 0
		.amdhsa_exception_int_div_zero 0
	.end_amdhsa_kernel
	.section	.text._ZN9rocsolver6v33100L11scal_kernelIddiEEvT1_T_PT0_S2_,"axG",@progbits,_ZN9rocsolver6v33100L11scal_kernelIddiEEvT1_T_PT0_S2_,comdat
.Lfunc_end18:
	.size	_ZN9rocsolver6v33100L11scal_kernelIddiEEvT1_T_PT0_S2_, .Lfunc_end18-_ZN9rocsolver6v33100L11scal_kernelIddiEEvT1_T_PT0_S2_
                                        ; -- End function
	.set _ZN9rocsolver6v33100L11scal_kernelIddiEEvT1_T_PT0_S2_.num_vgpr, 6
	.set _ZN9rocsolver6v33100L11scal_kernelIddiEEvT1_T_PT0_S2_.num_agpr, 0
	.set _ZN9rocsolver6v33100L11scal_kernelIddiEEvT1_T_PT0_S2_.numbered_sgpr, 11
	.set _ZN9rocsolver6v33100L11scal_kernelIddiEEvT1_T_PT0_S2_.num_named_barrier, 0
	.set _ZN9rocsolver6v33100L11scal_kernelIddiEEvT1_T_PT0_S2_.private_seg_size, 0
	.set _ZN9rocsolver6v33100L11scal_kernelIddiEEvT1_T_PT0_S2_.uses_vcc, 1
	.set _ZN9rocsolver6v33100L11scal_kernelIddiEEvT1_T_PT0_S2_.uses_flat_scratch, 0
	.set _ZN9rocsolver6v33100L11scal_kernelIddiEEvT1_T_PT0_S2_.has_dyn_sized_stack, 0
	.set _ZN9rocsolver6v33100L11scal_kernelIddiEEvT1_T_PT0_S2_.has_recursion, 0
	.set _ZN9rocsolver6v33100L11scal_kernelIddiEEvT1_T_PT0_S2_.has_indirect_call, 0
	.section	.AMDGPU.csdata,"",@progbits
; Kernel info:
; codeLenInByte = 388
; TotalNumSgprs: 13
; NumVgprs: 6
; ScratchSize: 0
; MemoryBound: 0
; FloatMode: 240
; IeeeMode: 1
; LDSByteSize: 0 bytes/workgroup (compile time only)
; SGPRBlocks: 0
; VGPRBlocks: 0
; NumSGPRsForWavesPerEU: 13
; NumVGPRsForWavesPerEU: 6
; NamedBarCnt: 0
; Occupancy: 16
; WaveLimiterHint : 0
; COMPUTE_PGM_RSRC2:SCRATCH_EN: 0
; COMPUTE_PGM_RSRC2:USER_SGPR: 2
; COMPUTE_PGM_RSRC2:TRAP_HANDLER: 0
; COMPUTE_PGM_RSRC2:TGID_X_EN: 1
; COMPUTE_PGM_RSRC2:TGID_Y_EN: 0
; COMPUTE_PGM_RSRC2:TGID_Z_EN: 0
; COMPUTE_PGM_RSRC2:TIDIG_COMP_CNT: 0
	.section	.text._ZN9rocsolver6v33100L17bdsqr_lower2upperIddPdS2_EEviiiPT0_lS4_lT1_iilT2_iilPiS4_lS7_,"axG",@progbits,_ZN9rocsolver6v33100L17bdsqr_lower2upperIddPdS2_EEviiiPT0_lS4_lT1_iilT2_iilPiS4_lS7_,comdat
	.globl	_ZN9rocsolver6v33100L17bdsqr_lower2upperIddPdS2_EEviiiPT0_lS4_lT1_iilT2_iilPiS4_lS7_ ; -- Begin function _ZN9rocsolver6v33100L17bdsqr_lower2upperIddPdS2_EEviiiPT0_lS4_lT1_iilT2_iilPiS4_lS7_
	.p2align	8
	.type	_ZN9rocsolver6v33100L17bdsqr_lower2upperIddPdS2_EEviiiPT0_lS4_lT1_iilT2_iilPiS4_lS7_,@function
_ZN9rocsolver6v33100L17bdsqr_lower2upperIddPdS2_EEviiiPT0_lS4_lT1_iilT2_iilPiS4_lS7_: ; @_ZN9rocsolver6v33100L17bdsqr_lower2upperIddPdS2_EEviiiPT0_lS4_lT1_iilT2_iilPiS4_lS7_
; %bb.0:
	s_load_b64 s[2:3], s[0:1], 0x78
	s_bfe_u32 s4, ttmp6, 0x40010
	s_bfe_u32 s5, ttmp6, 0x40004
	s_add_co_i32 s4, s4, 1
	s_getreg_b32 s6, hwreg(HW_REG_IB_STS2, 6, 4)
	s_mul_i32 s4, ttmp7, s4
	s_delay_alu instid0(SALU_CYCLE_1) | instskip(SKIP_2) | instid1(SALU_CYCLE_1)
	s_add_co_i32 s5, s5, s4
	s_cmp_eq_u32 s6, 0
	s_cselect_b32 s24, ttmp7, s5
	s_ashr_i32 s25, s24, 31
	s_delay_alu instid0(SALU_CYCLE_1)
	s_lshl_b64 s[4:5], s[24:25], 2
	s_wait_kmcnt 0x0
	s_add_nc_u64 s[2:3], s[2:3], s[4:5]
	s_load_b32 s2, s[2:3], 0x8
	s_wait_kmcnt 0x0
	s_cmp_lg_u32 s2, 0
	s_cbranch_scc1 .LBB19_34
; %bb.1:
	s_clause 0x1
	s_load_b256 s[4:11], s[0:1], 0x30
	s_load_b128 s[16:19], s[0:1], 0x68
	s_mov_b64 s[2:3], 0
	s_mov_b64 s[22:23], 0
	s_wait_kmcnt 0x0
	s_cmp_eq_u64 s[4:5], 0
	s_cbranch_scc1 .LBB19_3
; %bb.2:
	s_mul_u64 s[8:9], s[8:9], s[24:25]
	s_ashr_i32 s13, s6, 31
	s_lshl_b64 s[8:9], s[8:9], 3
	s_mov_b32 s12, s6
	s_add_nc_u64 s[4:5], s[4:5], s[8:9]
	s_lshl_b64 s[8:9], s[12:13], 3
	s_delay_alu instid0(SALU_CYCLE_1)
	s_add_nc_u64 s[22:23], s[4:5], s[8:9]
.LBB19_3:
	s_load_b64 s[20:21], s[0:1], 0x50
	s_cmp_eq_u64 s[10:11], 0
	s_cbranch_scc1 .LBB19_5
; %bb.4:
	s_load_b64 s[2:3], s[0:1], 0x58
	s_wait_kmcnt 0x0
	s_ashr_i32 s5, s20, 31
	s_mov_b32 s4, s20
	s_delay_alu instid0(SALU_CYCLE_1) | instskip(SKIP_1) | instid1(SALU_CYCLE_1)
	s_lshl_b64 s[4:5], s[4:5], 3
	s_mul_u64 s[2:3], s[2:3], s[24:25]
	s_lshl_b64 s[2:3], s[2:3], 3
	s_delay_alu instid0(SALU_CYCLE_1) | instskip(NEXT) | instid1(SALU_CYCLE_1)
	s_add_nc_u64 s[2:3], s[10:11], s[2:3]
	s_add_nc_u64 s[2:3], s[2:3], s[4:5]
.LBB19_5:
	s_load_b96 s[4:6], s[0:1], 0x0
	s_mul_u64 s[18:19], s[18:19], s[24:25]
	s_wait_kmcnt 0x0
	s_mov_b32 s20, exec_lo
	v_cmpx_eq_u32_e32 0, v0
	s_cbranch_execz .LBB19_22
; %bb.6:
	s_load_b256 s[8:15], s[0:1], 0x10
	s_add_co_i32 s26, s4, -1
	s_wait_kmcnt 0x0
	s_mul_u64 s[10:11], s[10:11], s[24:25]
	s_delay_alu instid0(SALU_CYCLE_1)
	s_lshl_b64 s[10:11], s[10:11], 3
	s_cmp_lt_i32 s4, 2
	s_add_nc_u64 s[8:9], s[8:9], s[10:11]
	s_load_b64 s[10:11], s[8:9], 0x0
	s_wait_kmcnt 0x0
	v_mov_b64_e32 v[2:3], s[10:11]
	s_cbranch_scc1 .LBB19_21
; %bb.7:
	s_mul_u64 s[14:15], s[14:15], s[24:25]
	v_mov_b64_e32 v[2:3], s[10:11]
	s_lshl_b64 s[14:15], s[14:15], 3
	s_or_b32 s28, s6, s5
	s_add_nc_u64 s[24:25], s[12:13], s[14:15]
	s_lshl_b64 s[14:15], s[18:19], 3
	s_load_b64 s[12:13], s[24:25], 0x0
	v_mov_b32_e32 v1, 0
	s_cmp_lg_u32 s28, 0
	s_add_nc_u64 s[10:11], s[16:17], s[14:15]
	s_mov_b32 s27, 0
	s_cselect_b32 s28, -1, 0
	s_add_nc_u64 s[14:15], s[8:9], 8
	s_wait_xcnt 0x0
	s_add_nc_u64 s[24:25], s[24:25], 8
	s_wait_kmcnt 0x0
	v_mov_b64_e32 v[4:5], s[12:13]
	s_add_nc_u64 s[12:13], s[10:11], 32
	s_branch .LBB19_9
.LBB19_8:                               ;   in Loop: Header=BB19_9 Depth=1
	s_wait_loadcnt 0x0
	v_mul_f64_e32 v[2:3], v[6:7], v[2:3]
	s_add_co_i32 s27, s27, 1
	s_wait_xcnt 0x1
	s_add_nc_u64 s[12:13], s[12:13], 8
	s_wait_xcnt 0x0
	s_add_nc_u64 s[14:15], s[14:15], 8
	s_cmp_lg_u32 s26, s27
	s_add_nc_u64 s[24:25], s[24:25], 8
	s_cbranch_scc0 .LBB19_21
.LBB19_9:                               ; =>This Inner Loop Header: Depth=1
	s_delay_alu instid0(VALU_DEP_1)
	v_cmp_eq_f64_e32 vcc_lo, 0, v[4:5]
	s_cbranch_vccnz .LBB19_13
; %bb.10:                               ;   in Loop: Header=BB19_9 Depth=1
	s_delay_alu instid0(VALU_DEP_2)
	v_cmp_neq_f64_e32 vcc_lo, 0, v[2:3]
	s_cbranch_vccz .LBB19_14
; %bb.11:                               ;   in Loop: Header=BB19_9 Depth=1
	v_cmp_ngt_f64_e64 s29, |v[4:5]|, |v[2:3]|
	s_and_b32 vcc_lo, exec_lo, s29
	s_cbranch_vccz .LBB19_15
; %bb.12:                               ;   in Loop: Header=BB19_9 Depth=1
	v_div_scale_f64 v[6:7], null, v[2:3], v[2:3], -v[4:5]
	v_div_scale_f64 v[12:13], vcc_lo, -v[4:5], v[2:3], -v[4:5]
	s_delay_alu instid0(VALU_DEP_2) | instskip(SKIP_1) | instid1(TRANS32_DEP_1)
	v_rcp_f64_e32 v[8:9], v[6:7]
	v_nop
	v_fma_f64 v[10:11], -v[6:7], v[8:9], 1.0
	s_delay_alu instid0(VALU_DEP_1) | instskip(NEXT) | instid1(VALU_DEP_1)
	v_fmac_f64_e32 v[8:9], v[8:9], v[10:11]
	v_fma_f64 v[10:11], -v[6:7], v[8:9], 1.0
	s_delay_alu instid0(VALU_DEP_1) | instskip(NEXT) | instid1(VALU_DEP_1)
	v_fmac_f64_e32 v[8:9], v[8:9], v[10:11]
	v_mul_f64_e32 v[10:11], v[12:13], v[8:9]
	s_delay_alu instid0(VALU_DEP_1) | instskip(NEXT) | instid1(VALU_DEP_1)
	v_fma_f64 v[6:7], -v[6:7], v[10:11], v[12:13]
	v_div_fmas_f64 v[6:7], v[6:7], v[8:9], v[10:11]
	s_delay_alu instid0(VALU_DEP_1) | instskip(NEXT) | instid1(VALU_DEP_1)
	v_div_fixup_f64 v[8:9], v[6:7], v[2:3], -v[4:5]
	v_fma_f64 v[6:7], v[8:9], v[8:9], 1.0
	s_delay_alu instid0(VALU_DEP_1) | instskip(SKIP_2) | instid1(SALU_CYCLE_1)
	v_cmp_gt_f64_e32 vcc_lo, 0x10000000, v[6:7]
	s_and_b32 s29, vcc_lo, exec_lo
	s_cselect_b32 s29, 0x100, 0
	v_ldexp_f64 v[6:7], v[6:7], s29
	s_cselect_b32 s29, 0xffffff80, 0
	s_delay_alu instid0(VALU_DEP_1) | instskip(SKIP_1) | instid1(TRANS32_DEP_1)
	v_rsq_f64_e32 v[10:11], v[6:7]
	v_cmp_class_f64_e64 vcc_lo, v[6:7], 0x260
	v_mul_f64_e32 v[12:13], v[6:7], v[10:11]
	v_mul_f64_e32 v[10:11], 0.5, v[10:11]
	s_delay_alu instid0(VALU_DEP_1) | instskip(NEXT) | instid1(VALU_DEP_1)
	v_fma_f64 v[14:15], -v[10:11], v[12:13], 0.5
	v_fmac_f64_e32 v[12:13], v[12:13], v[14:15]
	v_fmac_f64_e32 v[10:11], v[10:11], v[14:15]
	s_delay_alu instid0(VALU_DEP_2) | instskip(NEXT) | instid1(VALU_DEP_1)
	v_fma_f64 v[14:15], -v[12:13], v[12:13], v[6:7]
	v_fmac_f64_e32 v[12:13], v[14:15], v[10:11]
	s_delay_alu instid0(VALU_DEP_1) | instskip(NEXT) | instid1(VALU_DEP_1)
	v_fma_f64 v[14:15], -v[12:13], v[12:13], v[6:7]
	v_fmac_f64_e32 v[12:13], v[14:15], v[10:11]
	s_delay_alu instid0(VALU_DEP_1) | instskip(NEXT) | instid1(VALU_DEP_1)
	v_ldexp_f64 v[10:11], v[12:13], s29
	v_dual_cndmask_b32 v7, v11, v7 :: v_dual_cndmask_b32 v6, v10, v6
	s_delay_alu instid0(VALU_DEP_1) | instskip(NEXT) | instid1(VALU_DEP_1)
	v_div_scale_f64 v[10:11], null, v[6:7], v[6:7], 1.0
	v_rcp_f64_e32 v[12:13], v[10:11]
	v_nop
	s_delay_alu instid0(TRANS32_DEP_1) | instskip(NEXT) | instid1(VALU_DEP_1)
	v_fma_f64 v[14:15], -v[10:11], v[12:13], 1.0
	v_fmac_f64_e32 v[12:13], v[12:13], v[14:15]
	s_delay_alu instid0(VALU_DEP_1) | instskip(NEXT) | instid1(VALU_DEP_1)
	v_fma_f64 v[14:15], -v[10:11], v[12:13], 1.0
	v_fmac_f64_e32 v[12:13], v[12:13], v[14:15]
	v_div_scale_f64 v[14:15], vcc_lo, 1.0, v[6:7], 1.0
	s_delay_alu instid0(VALU_DEP_1) | instskip(NEXT) | instid1(VALU_DEP_1)
	v_mul_f64_e32 v[16:17], v[14:15], v[12:13]
	v_fma_f64 v[10:11], -v[10:11], v[16:17], v[14:15]
	s_delay_alu instid0(VALU_DEP_1) | instskip(NEXT) | instid1(VALU_DEP_1)
	v_div_fmas_f64 v[10:11], v[10:11], v[12:13], v[16:17]
	v_div_fixup_f64 v[6:7], v[10:11], v[6:7], 1.0
	s_delay_alu instid0(VALU_DEP_1)
	v_mul_f64_e32 v[8:9], v[8:9], v[6:7]
	s_cbranch_execz .LBB19_16
	s_branch .LBB19_17
.LBB19_13:                              ;   in Loop: Header=BB19_9 Depth=1
	v_mov_b64_e32 v[8:9], 0
	v_mov_b64_e32 v[6:7], 1.0
	s_branch .LBB19_19
.LBB19_14:                              ;   in Loop: Header=BB19_9 Depth=1
	v_xor_b32_e32 v5, 0x80000000, v5
                                        ; implicit-def: $vgpr8_vgpr9
                                        ; implicit-def: $vgpr6_vgpr7
	s_delay_alu instid0(VALU_DEP_1)
	v_mov_b64_e32 v[2:3], v[4:5]
	s_cbranch_execnz .LBB19_18
	s_branch .LBB19_19
.LBB19_15:                              ;   in Loop: Header=BB19_9 Depth=1
                                        ; implicit-def: $vgpr8_vgpr9
                                        ; implicit-def: $vgpr6_vgpr7
.LBB19_16:                              ;   in Loop: Header=BB19_9 Depth=1
	v_div_scale_f64 v[6:7], null, v[4:5], v[4:5], -v[2:3]
	v_div_scale_f64 v[12:13], vcc_lo, -v[2:3], v[4:5], -v[2:3]
	s_delay_alu instid0(VALU_DEP_2) | instskip(SKIP_1) | instid1(TRANS32_DEP_1)
	v_rcp_f64_e32 v[8:9], v[6:7]
	v_nop
	v_fma_f64 v[10:11], -v[6:7], v[8:9], 1.0
	s_delay_alu instid0(VALU_DEP_1) | instskip(NEXT) | instid1(VALU_DEP_1)
	v_fmac_f64_e32 v[8:9], v[8:9], v[10:11]
	v_fma_f64 v[10:11], -v[6:7], v[8:9], 1.0
	s_delay_alu instid0(VALU_DEP_1) | instskip(NEXT) | instid1(VALU_DEP_1)
	v_fmac_f64_e32 v[8:9], v[8:9], v[10:11]
	v_mul_f64_e32 v[10:11], v[12:13], v[8:9]
	s_delay_alu instid0(VALU_DEP_1) | instskip(NEXT) | instid1(VALU_DEP_1)
	v_fma_f64 v[6:7], -v[6:7], v[10:11], v[12:13]
	v_div_fmas_f64 v[6:7], v[6:7], v[8:9], v[10:11]
	s_delay_alu instid0(VALU_DEP_1) | instskip(NEXT) | instid1(VALU_DEP_1)
	v_div_fixup_f64 v[6:7], v[6:7], v[4:5], -v[2:3]
	v_fma_f64 v[8:9], v[6:7], v[6:7], 1.0
	s_delay_alu instid0(VALU_DEP_1) | instskip(SKIP_2) | instid1(SALU_CYCLE_1)
	v_cmp_gt_f64_e32 vcc_lo, 0x10000000, v[8:9]
	s_and_b32 s29, vcc_lo, exec_lo
	s_cselect_b32 s29, 0x100, 0
	v_ldexp_f64 v[8:9], v[8:9], s29
	s_cselect_b32 s29, 0xffffff80, 0
	s_delay_alu instid0(VALU_DEP_1) | instskip(SKIP_1) | instid1(TRANS32_DEP_1)
	v_rsq_f64_e32 v[10:11], v[8:9]
	v_cmp_class_f64_e64 vcc_lo, v[8:9], 0x260
	v_mul_f64_e32 v[12:13], v[8:9], v[10:11]
	v_mul_f64_e32 v[10:11], 0.5, v[10:11]
	s_delay_alu instid0(VALU_DEP_1) | instskip(NEXT) | instid1(VALU_DEP_1)
	v_fma_f64 v[14:15], -v[10:11], v[12:13], 0.5
	v_fmac_f64_e32 v[12:13], v[12:13], v[14:15]
	v_fmac_f64_e32 v[10:11], v[10:11], v[14:15]
	s_delay_alu instid0(VALU_DEP_2) | instskip(NEXT) | instid1(VALU_DEP_1)
	v_fma_f64 v[14:15], -v[12:13], v[12:13], v[8:9]
	v_fmac_f64_e32 v[12:13], v[14:15], v[10:11]
	s_delay_alu instid0(VALU_DEP_1) | instskip(NEXT) | instid1(VALU_DEP_1)
	v_fma_f64 v[14:15], -v[12:13], v[12:13], v[8:9]
	v_fmac_f64_e32 v[12:13], v[14:15], v[10:11]
	s_delay_alu instid0(VALU_DEP_1) | instskip(NEXT) | instid1(VALU_DEP_1)
	v_ldexp_f64 v[10:11], v[12:13], s29
	v_dual_cndmask_b32 v9, v11, v9 :: v_dual_cndmask_b32 v8, v10, v8
	s_delay_alu instid0(VALU_DEP_1) | instskip(NEXT) | instid1(VALU_DEP_1)
	v_div_scale_f64 v[10:11], null, v[8:9], v[8:9], 1.0
	v_rcp_f64_e32 v[12:13], v[10:11]
	v_nop
	s_delay_alu instid0(TRANS32_DEP_1) | instskip(NEXT) | instid1(VALU_DEP_1)
	v_fma_f64 v[14:15], -v[10:11], v[12:13], 1.0
	v_fmac_f64_e32 v[12:13], v[12:13], v[14:15]
	s_delay_alu instid0(VALU_DEP_1) | instskip(NEXT) | instid1(VALU_DEP_1)
	v_fma_f64 v[14:15], -v[10:11], v[12:13], 1.0
	v_fmac_f64_e32 v[12:13], v[12:13], v[14:15]
	v_div_scale_f64 v[14:15], vcc_lo, 1.0, v[8:9], 1.0
	s_delay_alu instid0(VALU_DEP_1) | instskip(NEXT) | instid1(VALU_DEP_1)
	v_mul_f64_e32 v[16:17], v[14:15], v[12:13]
	v_fma_f64 v[10:11], -v[10:11], v[16:17], v[14:15]
	s_delay_alu instid0(VALU_DEP_1) | instskip(NEXT) | instid1(VALU_DEP_1)
	v_div_fmas_f64 v[10:11], v[10:11], v[12:13], v[16:17]
	v_div_fixup_f64 v[8:9], v[10:11], v[8:9], 1.0
	s_delay_alu instid0(VALU_DEP_1)
	v_mul_f64_e32 v[6:7], v[6:7], v[8:9]
.LBB19_17:                              ;   in Loop: Header=BB19_9 Depth=1
	s_delay_alu instid0(VALU_DEP_1) | instskip(NEXT) | instid1(VALU_DEP_1)
	v_mul_f64_e32 v[4:5], v[4:5], v[8:9]
	v_fma_f64 v[2:3], v[2:3], v[6:7], -v[4:5]
	s_branch .LBB19_19
.LBB19_18:                              ;   in Loop: Header=BB19_9 Depth=1
	v_mov_b64_e32 v[6:7], 0
	v_mov_b64_e32 v[8:9], 1.0
.LBB19_19:                              ;   in Loop: Header=BB19_9 Depth=1
	s_clause 0x2
	global_load_b64 v[10:11], v1, s[14:15]
	global_store_b64 v1, v[2:3], s[14:15] offset:-8
	global_load_b64 v[4:5], v1, s[24:25]
	s_and_not1_b32 vcc_lo, exec_lo, s28
	s_wait_loadcnt 0x1
	s_wait_xcnt 0x1
	v_mul_f64_e64 v[2:3], v[10:11], -v[8:9]
	s_clause 0x1
	global_store_b64 v1, v[2:3], s[24:25] offset:-8
	global_load_b64 v[2:3], v1, s[14:15]
	s_cbranch_vccnz .LBB19_8
; %bb.20:                               ;   in Loop: Header=BB19_9 Depth=1
	s_add_co_i32 s29, s4, s27
	s_delay_alu instid0(SALU_CYCLE_1)
	v_mov_b32_e32 v10, s29
	global_store_b64 v1, v[6:7], s[12:13]
	global_store_b64 v10, v[8:9], s[10:11] offset:32 scale_offset
	s_branch .LBB19_8
.LBB19_21:
	v_mov_b32_e32 v1, s26
	global_store_b64 v1, v[2:3], s[8:9] scale_offset
.LBB19_22:
	s_wait_xcnt 0x0
	s_or_b32 exec_lo, exec_lo, s20
	s_delay_alu instid0(SALU_CYCLE_1)
	s_mov_b32 s20, exec_lo
	s_wait_storecnt 0x0
	s_barrier_signal -1
	s_barrier_wait -1
	v_cmpx_gt_i32_e64 s5, v0
	s_cbranch_execz .LBB19_28
; %bb.23:
	s_load_b32 s26, s[0:1], 0x8c
	s_add_co_i32 s28, s4, -1
	s_cmp_gt_i32 s4, 1
	v_dual_mov_b32 v1, 0 :: v_dual_mov_b32 v2, v0
	s_cselect_b32 s29, -1, 0
	s_lshl_b64 s[24:25], s[18:19], 3
	s_mov_b32 s14, s7
	s_mov_b32 s9, 0
	;; [unrolled: 1-line block ×3, first 2 shown]
	s_mul_i32 s10, s7, s28
	s_ashr_i32 s15, s7, 31
	s_add_nc_u64 s[24:25], s[16:17], s[24:25]
	s_lshl_b64 s[12:13], s[8:9], 3
	s_ashr_i32 s11, s10, 31
	s_lshl_b64 s[14:15], s[14:15], 3
	s_add_nc_u64 s[24:25], s[24:25], 32
	s_wait_kmcnt 0x0
	s_and_b32 s7, s26, 0xffff
	s_branch .LBB19_25
.LBB19_24:                              ;   in Loop: Header=BB19_25 Depth=1
	s_wait_xcnt 0x0
	v_add_nc_u32_e32 v2, s7, v2
	s_delay_alu instid0(VALU_DEP_2) | instskip(NEXT) | instid1(VALU_DEP_2)
	v_lshl_add_u64 v[6:7], s[10:11], 3, v[6:7]
	v_cmp_le_i32_e32 vcc_lo, s5, v2
	s_wait_loadcnt 0x0
	global_store_b64 v[6:7], v[4:5], off
	s_or_b32 s9, vcc_lo, s9
	s_wait_xcnt 0x0
	s_and_not1_b32 exec_lo, exec_lo, s9
	s_cbranch_execz .LBB19_28
.LBB19_25:                              ; =>This Loop Header: Depth=1
                                        ;     Child Loop BB19_27 Depth 2
	global_load_b64 v[4:5], v2, s[22:23] scale_offset
	v_ashrrev_i32_e32 v3, 31, v2
	s_and_not1_b32 vcc_lo, exec_lo, s29
	s_delay_alu instid0(VALU_DEP_1)
	v_lshl_add_u64 v[6:7], v[2:3], 3, s[22:23]
	s_cbranch_vccnz .LBB19_24
; %bb.26:                               ;   in Loop: Header=BB19_25 Depth=1
	s_delay_alu instid0(VALU_DEP_1)
	v_mov_b64_e32 v[8:9], v[6:7]
	s_mov_b32 s8, s28
	s_mov_b64 s[26:27], s[24:25]
.LBB19_27:                              ;   Parent Loop BB19_25 Depth=1
                                        ; =>  This Inner Loop Header: Depth=2
	s_delay_alu instid0(VALU_DEP_1)
	v_add_nc_u64_e32 v[10:11], s[14:15], v[8:9]
	s_add_nc_u64 s[30:31], s[26:27], s[12:13]
	s_add_co_i32 s8, s8, -1
	s_clause 0x1
	global_load_b64 v[12:13], v1, s[26:27]
	global_load_b64 v[14:15], v1, s[30:31]
	global_load_b64 v[16:17], v[10:11], off
	s_cmp_lg_u32 s8, 0
	s_wait_xcnt 0x2
	s_add_nc_u64 s[26:27], s[26:27], 8
	s_wait_loadcnt 0x0
	v_mul_f64_e32 v[18:19], v[16:17], v[14:15]
	s_delay_alu instid0(VALU_DEP_1)
	v_fma_f64 v[18:19], v[4:5], v[12:13], -v[18:19]
	v_mul_f64_e32 v[4:5], v[4:5], v[14:15]
	global_store_b64 v[8:9], v[18:19], off
	v_fmac_f64_e32 v[4:5], v[16:17], v[12:13]
	s_wait_xcnt 0x0
	v_mov_b64_e32 v[8:9], v[10:11]
	s_cbranch_scc1 .LBB19_27
	s_branch .LBB19_24
.LBB19_28:
	s_or_b32 exec_lo, exec_lo, s20
	s_delay_alu instid0(SALU_CYCLE_1)
	s_mov_b32 s5, exec_lo
	v_cmpx_gt_i32_e64 s6, v0
	s_cbranch_execz .LBB19_34
; %bb.29:
	s_load_b32 s12, s[0:1], 0x8c
	v_mul_lo_u32 v2, v0, s21
	s_wait_xcnt 0x0
	s_add_co_i32 s0, s4, -1
	s_cmp_gt_i32 s4, 1
	v_mov_b32_e32 v1, 0
	s_cselect_b32 s7, -1, 0
	s_lshl_b64 s[10:11], s[18:19], 3
	s_mov_b32 s5, 0
	s_add_nc_u64 s[10:11], s[16:17], s[10:11]
	s_add_nc_u64 s[8:9], s[2:3], 8
	s_ashr_i32 s1, s0, 31
	s_add_nc_u64 s[10:11], s[10:11], 32
	s_wait_kmcnt 0x0
	s_and_b32 s16, s12, 0xffff
	s_lshl_b64 s[12:13], s[4:5], 3
	s_mul_i32 s17, s21, s16
	s_branch .LBB19_31
.LBB19_30:                              ;   in Loop: Header=BB19_31 Depth=1
	v_dual_ashrrev_i32 v7, 31, v6 :: v_dual_add_nc_u32 v0, s16, v0
	v_add_nc_u32_e32 v2, s17, v2
	s_wait_xcnt 0x0
	s_delay_alu instid0(VALU_DEP_2) | instskip(NEXT) | instid1(VALU_DEP_3)
	v_lshl_add_u64 v[6:7], v[6:7], 3, s[2:3]
	v_cmp_le_i32_e32 vcc_lo, s6, v0
	s_delay_alu instid0(VALU_DEP_2)
	v_lshl_add_u64 v[6:7], s[0:1], 3, v[6:7]
	s_or_b32 s5, vcc_lo, s5
	s_wait_loadcnt 0x0
	global_store_b64 v[6:7], v[4:5], off
	s_wait_xcnt 0x0
	s_and_not1_b32 exec_lo, exec_lo, s5
	s_cbranch_execz .LBB19_34
.LBB19_31:                              ; =>This Loop Header: Depth=1
                                        ;     Child Loop BB19_33 Depth 2
	v_mul_lo_u32 v6, v0, s21
	s_and_not1_b32 vcc_lo, exec_lo, s7
	global_load_b64 v[4:5], v6, s[2:3] scale_offset
	s_cbranch_vccnz .LBB19_30
; %bb.32:                               ;   in Loop: Header=BB19_31 Depth=1
	v_ashrrev_i32_e32 v3, 31, v2
	s_mov_b32 s4, s0
	s_mov_b64 s[14:15], s[10:11]
	s_delay_alu instid0(VALU_DEP_1)
	v_lshl_add_u64 v[8:9], v[2:3], 3, s[8:9]
.LBB19_33:                              ;   Parent Loop BB19_31 Depth=1
                                        ; =>  This Inner Loop Header: Depth=2
	s_add_nc_u64 s[18:19], s[14:15], s[12:13]
	global_load_b64 v[10:11], v[8:9], off
	s_clause 0x1
	global_load_b64 v[12:13], v1, s[14:15]
	global_load_b64 v[14:15], v1, s[18:19]
	s_add_co_i32 s4, s4, -1
	s_wait_xcnt 0x1
	s_add_nc_u64 s[14:15], s[14:15], 8
	s_cmp_lg_u32 s4, 0
	s_wait_loadcnt 0x0
	v_mul_f64_e32 v[16:17], v[10:11], v[14:15]
	s_delay_alu instid0(VALU_DEP_1)
	v_fma_f64 v[16:17], v[4:5], v[12:13], -v[16:17]
	v_mul_f64_e32 v[4:5], v[4:5], v[14:15]
	global_store_b64 v[8:9], v[16:17], off offset:-8
	v_fmac_f64_e32 v[4:5], v[10:11], v[12:13]
	s_wait_xcnt 0x0
	v_add_nc_u64_e32 v[8:9], 8, v[8:9]
	s_cbranch_scc1 .LBB19_33
	s_branch .LBB19_30
.LBB19_34:
	s_endpgm
	.section	.rodata,"a",@progbits
	.p2align	6, 0x0
	.amdhsa_kernel _ZN9rocsolver6v33100L17bdsqr_lower2upperIddPdS2_EEviiiPT0_lS4_lT1_iilT2_iilPiS4_lS7_
		.amdhsa_group_segment_fixed_size 0
		.amdhsa_private_segment_fixed_size 0
		.amdhsa_kernarg_size 384
		.amdhsa_user_sgpr_count 2
		.amdhsa_user_sgpr_dispatch_ptr 0
		.amdhsa_user_sgpr_queue_ptr 0
		.amdhsa_user_sgpr_kernarg_segment_ptr 1
		.amdhsa_user_sgpr_dispatch_id 0
		.amdhsa_user_sgpr_kernarg_preload_length 0
		.amdhsa_user_sgpr_kernarg_preload_offset 0
		.amdhsa_user_sgpr_private_segment_size 0
		.amdhsa_wavefront_size32 1
		.amdhsa_uses_dynamic_stack 0
		.amdhsa_enable_private_segment 0
		.amdhsa_system_sgpr_workgroup_id_x 1
		.amdhsa_system_sgpr_workgroup_id_y 1
		.amdhsa_system_sgpr_workgroup_id_z 0
		.amdhsa_system_sgpr_workgroup_info 0
		.amdhsa_system_vgpr_workitem_id 0
		.amdhsa_next_free_vgpr 20
		.amdhsa_next_free_sgpr 32
		.amdhsa_named_barrier_count 0
		.amdhsa_reserve_vcc 1
		.amdhsa_float_round_mode_32 0
		.amdhsa_float_round_mode_16_64 0
		.amdhsa_float_denorm_mode_32 3
		.amdhsa_float_denorm_mode_16_64 3
		.amdhsa_fp16_overflow 0
		.amdhsa_memory_ordered 1
		.amdhsa_forward_progress 1
		.amdhsa_inst_pref_size 17
		.amdhsa_round_robin_scheduling 0
		.amdhsa_exception_fp_ieee_invalid_op 0
		.amdhsa_exception_fp_denorm_src 0
		.amdhsa_exception_fp_ieee_div_zero 0
		.amdhsa_exception_fp_ieee_overflow 0
		.amdhsa_exception_fp_ieee_underflow 0
		.amdhsa_exception_fp_ieee_inexact 0
		.amdhsa_exception_int_div_zero 0
	.end_amdhsa_kernel
	.section	.text._ZN9rocsolver6v33100L17bdsqr_lower2upperIddPdS2_EEviiiPT0_lS4_lT1_iilT2_iilPiS4_lS7_,"axG",@progbits,_ZN9rocsolver6v33100L17bdsqr_lower2upperIddPdS2_EEviiiPT0_lS4_lT1_iilT2_iilPiS4_lS7_,comdat
.Lfunc_end19:
	.size	_ZN9rocsolver6v33100L17bdsqr_lower2upperIddPdS2_EEviiiPT0_lS4_lT1_iilT2_iilPiS4_lS7_, .Lfunc_end19-_ZN9rocsolver6v33100L17bdsqr_lower2upperIddPdS2_EEviiiPT0_lS4_lT1_iilT2_iilPiS4_lS7_
                                        ; -- End function
	.set _ZN9rocsolver6v33100L17bdsqr_lower2upperIddPdS2_EEviiiPT0_lS4_lT1_iilT2_iilPiS4_lS7_.num_vgpr, 20
	.set _ZN9rocsolver6v33100L17bdsqr_lower2upperIddPdS2_EEviiiPT0_lS4_lT1_iilT2_iilPiS4_lS7_.num_agpr, 0
	.set _ZN9rocsolver6v33100L17bdsqr_lower2upperIddPdS2_EEviiiPT0_lS4_lT1_iilT2_iilPiS4_lS7_.numbered_sgpr, 32
	.set _ZN9rocsolver6v33100L17bdsqr_lower2upperIddPdS2_EEviiiPT0_lS4_lT1_iilT2_iilPiS4_lS7_.num_named_barrier, 0
	.set _ZN9rocsolver6v33100L17bdsqr_lower2upperIddPdS2_EEviiiPT0_lS4_lT1_iilT2_iilPiS4_lS7_.private_seg_size, 0
	.set _ZN9rocsolver6v33100L17bdsqr_lower2upperIddPdS2_EEviiiPT0_lS4_lT1_iilT2_iilPiS4_lS7_.uses_vcc, 1
	.set _ZN9rocsolver6v33100L17bdsqr_lower2upperIddPdS2_EEviiiPT0_lS4_lT1_iilT2_iilPiS4_lS7_.uses_flat_scratch, 0
	.set _ZN9rocsolver6v33100L17bdsqr_lower2upperIddPdS2_EEviiiPT0_lS4_lT1_iilT2_iilPiS4_lS7_.has_dyn_sized_stack, 0
	.set _ZN9rocsolver6v33100L17bdsqr_lower2upperIddPdS2_EEviiiPT0_lS4_lT1_iilT2_iilPiS4_lS7_.has_recursion, 0
	.set _ZN9rocsolver6v33100L17bdsqr_lower2upperIddPdS2_EEviiiPT0_lS4_lT1_iilT2_iilPiS4_lS7_.has_indirect_call, 0
	.section	.AMDGPU.csdata,"",@progbits
; Kernel info:
; codeLenInByte = 2108
; TotalNumSgprs: 34
; NumVgprs: 20
; ScratchSize: 0
; MemoryBound: 0
; FloatMode: 240
; IeeeMode: 1
; LDSByteSize: 0 bytes/workgroup (compile time only)
; SGPRBlocks: 0
; VGPRBlocks: 1
; NumSGPRsForWavesPerEU: 34
; NumVGPRsForWavesPerEU: 20
; NamedBarCnt: 0
; Occupancy: 16
; WaveLimiterHint : 0
; COMPUTE_PGM_RSRC2:SCRATCH_EN: 0
; COMPUTE_PGM_RSRC2:USER_SGPR: 2
; COMPUTE_PGM_RSRC2:TRAP_HANDLER: 0
; COMPUTE_PGM_RSRC2:TGID_X_EN: 1
; COMPUTE_PGM_RSRC2:TGID_Y_EN: 1
; COMPUTE_PGM_RSRC2:TGID_Z_EN: 0
; COMPUTE_PGM_RSRC2:TIDIG_COMP_CNT: 0
	.section	.text._ZN9rocsolver6v33100L13bdsqr_computeILi256EddPdS2_S2_EEviiiiPT1_lS4_lT2_iilT3_iilT4_iiliS3_S3_S3_S3_PiS4_ilS8_,"axG",@progbits,_ZN9rocsolver6v33100L13bdsqr_computeILi256EddPdS2_S2_EEviiiiPT1_lS4_lT2_iilT3_iilT4_iiliS3_S3_S3_S3_PiS4_ilS8_,comdat
	.globl	_ZN9rocsolver6v33100L13bdsqr_computeILi256EddPdS2_S2_EEviiiiPT1_lS4_lT2_iilT3_iilT4_iiliS3_S3_S3_S3_PiS4_ilS8_ ; -- Begin function _ZN9rocsolver6v33100L13bdsqr_computeILi256EddPdS2_S2_EEviiiiPT1_lS4_lT2_iilT3_iilT4_iiliS3_S3_S3_S3_PiS4_ilS8_
	.p2align	8
	.type	_ZN9rocsolver6v33100L13bdsqr_computeILi256EddPdS2_S2_EEviiiiPT1_lS4_lT2_iilT3_iilT4_iiliS3_S3_S3_S3_PiS4_ilS8_,@function
_ZN9rocsolver6v33100L13bdsqr_computeILi256EddPdS2_S2_EEviiiiPT1_lS4_lT2_iilT3_iilT4_iiliS3_S3_S3_S3_PiS4_ilS8_: ; @_ZN9rocsolver6v33100L13bdsqr_computeILi256EddPdS2_S2_EEviiiiPT1_lS4_lT2_iilT3_iilT4_iiliS3_S3_S3_S3_PiS4_ilS8_
; %bb.0:
	s_load_b128 s[4:7], s[0:1], 0xb8
	s_bfe_u32 s2, ttmp6, 0x40014
	s_lshr_b32 s3, ttmp7, 16
	s_add_co_i32 s2, s2, 1
	s_bfe_u32 s9, ttmp6, 0x40008
	s_mul_i32 s8, s3, s2
	s_getreg_b32 s2, hwreg(HW_REG_IB_STS2, 6, 4)
	s_add_co_i32 s9, s9, s8
	s_cmp_eq_u32 s2, 0
	s_mov_b32 s45, 0
	s_cselect_b32 s44, s3, s9
	s_wait_kmcnt 0x0
	s_load_b32 s3, s[6:7], s44 offset:0x8 scale_offset
	s_wait_kmcnt 0x0
	s_cmp_lg_u32 s3, 0
	s_cbranch_scc1 .LBB20_171
; %bb.1:
	s_load_b256 s[8:15], s[0:1], 0x30
	s_mov_b64 s[34:35], 0
	s_mov_b64 s[36:37], 0
	s_wait_kmcnt 0x0
	s_cmp_eq_u64 s[8:9], 0
	s_cbranch_scc1 .LBB20_3
; %bb.2:
	s_mul_u64 s[6:7], s[12:13], s[44:45]
	s_ashr_i32 s13, s10, 31
	s_lshl_b64 s[6:7], s[6:7], 3
	s_mov_b32 s12, s10
	s_add_nc_u64 s[6:7], s[8:9], s[6:7]
	s_lshl_b64 s[8:9], s[12:13], 3
	s_delay_alu instid0(SALU_CYCLE_1)
	s_add_nc_u64 s[36:37], s[6:7], s[8:9]
.LBB20_3:
	s_clause 0x1
	s_load_b64 s[8:9], s[0:1], 0x50
	s_load_b128 s[16:19], s[0:1], 0x58
	s_cmp_eq_u64 s[14:15], 0
	s_cbranch_scc1 .LBB20_5
; %bb.4:
	s_wait_kmcnt 0x0
	s_mul_u64 s[6:7], s[16:17], s[44:45]
	s_ashr_i32 s13, s8, 31
	s_lshl_b64 s[6:7], s[6:7], 3
	s_mov_b32 s12, s8
	s_add_nc_u64 s[6:7], s[14:15], s[6:7]
	s_lshl_b64 s[12:13], s[12:13], 3
	s_delay_alu instid0(SALU_CYCLE_1)
	s_add_nc_u64 s[34:35], s[6:7], s[12:13]
.LBB20_5:
	s_load_b64 s[38:39], s[0:1], 0x68
	s_wait_kmcnt 0x0
	s_cmp_eq_u64 s[18:19], 0
	s_mov_b64 s[40:41], 0
	s_cbranch_scc1 .LBB20_7
; %bb.6:
	s_load_b64 s[6:7], s[0:1], 0x70
	s_ashr_i32 s13, s38, 31
	s_mov_b32 s12, s38
	s_delay_alu instid0(SALU_CYCLE_1) | instskip(SKIP_2) | instid1(SALU_CYCLE_1)
	s_lshl_b64 s[12:13], s[12:13], 3
	s_wait_kmcnt 0x0
	s_mul_u64 s[6:7], s[6:7], s[44:45]
	s_lshl_b64 s[6:7], s[6:7], 3
	s_delay_alu instid0(SALU_CYCLE_1) | instskip(NEXT) | instid1(SALU_CYCLE_1)
	s_add_nc_u64 s[6:7], s[18:19], s[6:7]
	s_add_nc_u64 s[40:41], s[6:7], s[12:13]
.LBB20_7:
	s_load_b256 s[12:19], s[0:1], 0x90
	s_bfe_u32 s3, ttmp6, 0x40010
	s_and_b32 s6, ttmp7, 0xffff
	s_add_co_i32 s3, s3, 1
	s_bfe_u32 s7, ttmp6, 0x40004
	s_mul_i32 s3, s6, s3
	s_delay_alu instid0(SALU_CYCLE_1)
	s_add_co_i32 s7, s7, s3
	s_cmp_eq_u32 s2, 0
	s_mul_u64 s[2:3], s[4:5], s[44:45]
	s_cselect_b32 s8, s6, s7
	s_lshl_b64 s[2:3], s[2:3], 3
	s_wait_kmcnt 0x0
	s_add_nc_u64 s[18:19], s[18:19], s[2:3]
	s_load_b64 s[2:3], s[18:19], 0x10
	s_wait_kmcnt 0x0
	v_cvt_i32_f64_e32 v1, s[2:3]
	s_delay_alu instid0(VALU_DEP_1)
	v_cmp_ge_i32_e32 vcc_lo, s8, v1
	s_cbranch_vccnz .LBB20_171
; %bb.8:
	s_clause 0x3
	s_load_b128 s[28:31], s[0:1], 0x0
	s_load_b256 s[20:27], s[0:1], 0x10
	s_load_b32 s10, s[0:1], 0x78
	s_load_b64 s[6:7], s[0:1], 0x80
                                        ; implicit-def: $vgpr34 : SGPR spill to VGPR lane
	s_add_nc_u64 s[42:43], s[0:1], 0xc8
	s_clause 0x1
	s_load_b32 s33, s[0:1], 0xb0
	s_load_b32 s38, s[0:1], 0xcc
	v_dual_mov_b32 v3, 0 :: v_dual_lshlrev_b32 v2, 3, v0
	v_mul_lo_u32 v22, v0, s11
	v_mul_lo_u32 v23, v0, s39
	v_mov_b64_e32 v[4:5], 0
	v_cmp_gt_u32_e64 s2, 0x80, v0
	v_cmp_gt_u32_e64 s3, 64, v0
	;; [unrolled: 1-line block ×3, first 2 shown]
	v_cmp_eq_u32_e64 s5, 0, v0
	v_mov_b32_e32 v24, 1
	s_add_nc_u64 s[46:47], s[18:19], 24
	s_add_nc_u64 s[52:53], s[18:19], 40
	;; [unrolled: 1-line block ×3, first 2 shown]
	s_wait_kmcnt 0x0
	s_mul_u64 s[26:27], s[26:27], s[44:45]
	v_writelane_b32 v34, s6, 0
	s_mul_u64 s[0:1], s[22:23], s[44:45]
	s_add_nc_u64 s[48:49], s[24:25], -8
	s_lshl_b64 s[22:23], s[0:1], 3
	v_cmp_gt_i32_e64 s1, s30, v0
	v_writelane_b32 v34, s7, 1
	s_mul_i32 s6, s44, s28
	s_add_nc_u64 s[20:21], s[20:21], s[22:23]
	s_lshl_b32 s6, s6, 1
	v_add_nc_u64_e32 v[6:7], s[20:21], v[2:3]
	v_writelane_b32 v34, s26, 2
	s_ashr_i32 s7, s6, 31
	s_delay_alu instid0(SALU_CYCLE_1)
	s_lshl_b64 s[44:45], s[6:7], 2
	v_cmp_gt_i32_e64 s6, s31, v0
	v_writelane_b32 v34, s27, 3
	s_lshl_b64 s[26:27], s[26:27], 3
	s_cmp_lg_u32 s29, 0
	s_add_nc_u64 s[24:25], s[24:25], s[26:27]
	s_cselect_b32 s28, -1, 0
	s_or_b32 s0, s31, s30
	v_writelane_b32 v34, s48, 4
	s_cmp_eq_u32 s0, 0
	v_add_nc_u64_e32 v[8:9], s[24:25], v[2:3]
	s_cselect_b32 s104, -1, 0
	s_cmp_lg_u64 s[36:37], 0
	v_writelane_b32 v34, s49, 5
	s_cselect_b32 s7, -1, 0
	v_cmp_gt_i32_e64 s0, s29, v0
	s_and_b32 vcc_hi, s28, s7
	s_cmp_lg_u64 s[34:35], 0
	s_add_nc_u64 s[16:17], s[16:17], s[44:45]
	s_cselect_b32 s7, -1, 0
	s_cmp_lg_u32 s30, 0
	s_cselect_b32 s22, -1, 0
	s_delay_alu instid0(SALU_CYCLE_1) | instskip(SKIP_4) | instid1(SALU_CYCLE_1)
	s_and_b32 s48, s22, s7
	s_cmp_lg_u64 s[40:41], 0
	s_cselect_b32 s7, -1, 0
	s_cmp_lg_u32 s31, 0
	s_cselect_b32 s22, -1, 0
	s_and_b32 s49, s22, s7
	s_add_nc_u64 s[22:23], s[24:25], -8
	s_delay_alu instid0(SALU_CYCLE_1) | instskip(SKIP_2) | instid1(SALU_CYCLE_1)
	v_writelane_b32 v34, s22, 6
	v_writelane_b32 v34, s23, 7
	s_add_nc_u64 s[22:23], s[20:21], -8
	v_writelane_b32 v34, s22, 8
	v_writelane_b32 v34, s23, 9
	s_branch .LBB20_11
.LBB20_9:                               ;   in Loop: Header=BB20_11 Depth=1
	s_or_b32 exec_lo, exec_lo, s7
.LBB20_10:                              ;   in Loop: Header=BB20_11 Depth=1
	s_add_co_i32 s8, s38, s8
	s_delay_alu instid0(SALU_CYCLE_1)
	v_cmp_lt_i32_e32 vcc_lo, s8, v1
	s_cbranch_vccz .LBB20_171
.LBB20_11:                              ; =>This Loop Header: Depth=1
                                        ;     Child Loop BB20_15 Depth 2
                                        ;     Child Loop BB20_40 Depth 2
	;; [unrolled: 1-line block ×5, first 2 shown]
                                        ;       Child Loop BB20_155 Depth 3
                                        ;     Child Loop BB20_160 Depth 2
                                        ;       Child Loop BB20_161 Depth 3
                                        ;     Child Loop BB20_166 Depth 2
                                        ;       Child Loop BB20_167 Depth 3
	s_lshl_b32 s22, s8, 2
	s_delay_alu instid0(SALU_CYCLE_1) | instskip(NEXT) | instid1(SALU_CYCLE_1)
	s_ashr_i32 s23, s22, 31
	s_lshl_b64 s[22:23], s[22:23], 2
	s_wait_xcnt 0x0
	s_add_nc_u64 s[66:67], s[16:17], s[22:23]
	global_load_b64 v[10:11], v3, s[66:67] offset:4
	s_wait_loadcnt 0x0
	v_readfirstlane_b32 s58, v11
	v_readfirstlane_b32 s60, v10
	s_cmp_le_i32 s58, s60
	s_cbranch_scc1 .LBB20_10
; %bb.12:                               ;   in Loop: Header=BB20_11 Depth=1
	global_load_b32 v10, v3, s[66:67] offset:12
	s_wait_loadcnt 0x0
	v_cmp_le_i32_e32 vcc_lo, s10, v10
	s_cbranch_vccnz .LBB20_10
; %bb.13:                               ;   in Loop: Header=BB20_11 Depth=1
	v_mov_b64_e32 v[10:11], 0
	s_sub_co_i32 s56, s58, s60
	s_ashr_i32 s61, s60, 31
	s_mov_b32 s22, exec_lo
	s_wait_xcnt 0x0
	v_cmpx_ge_i32_e64 s56, v0
	s_cbranch_execz .LBB20_17
; %bb.14:                               ;   in Loop: Header=BB20_11 Depth=1
	v_mov_b64_e32 v[10:11], 0
	v_lshl_add_u64 v[12:13], s[60:61], 3, v[6:7]
	v_mov_b32_e32 v14, v0
	s_mov_b32 s23, 0
.LBB20_15:                              ;   Parent Loop BB20_11 Depth=1
                                        ; =>  This Inner Loop Header: Depth=2
	global_load_b64 v[16:17], v[12:13], off
	s_wait_xcnt 0x0
	v_add_nc_u64_e32 v[12:13], 0x800, v[12:13]
	s_wait_loadcnt 0x0
	v_cmp_lt_f64_e64 vcc_lo, v[10:11], |v[16:17]|
	v_and_b32_e32 v15, 0x7fffffff, v17
	s_delay_alu instid0(VALU_DEP_1) | instskip(NEXT) | instid1(VALU_DEP_1)
	v_dual_cndmask_b32 v11, v11, v15 :: v_dual_add_nc_u32 v14, 0x100, v14
	v_cmp_lt_i32_e64 s7, s56, v14
	v_cndmask_b32_e32 v10, v10, v16, vcc_lo
	s_or_b32 s23, s7, s23
	s_delay_alu instid0(SALU_CYCLE_1)
	s_and_not1_b32 exec_lo, exec_lo, s23
	s_cbranch_execnz .LBB20_15
; %bb.16:                               ;   in Loop: Header=BB20_11 Depth=1
	s_or_b32 exec_lo, exec_lo, s23
.LBB20_17:                              ;   in Loop: Header=BB20_11 Depth=1
	s_delay_alu instid0(SALU_CYCLE_1)
	s_or_b32 exec_lo, exec_lo, s22
	ds_store_b64 v2, v[10:11]
	s_wait_dscnt 0x0
	s_barrier_signal -1
	s_barrier_wait -1
	s_and_saveexec_b32 s7, s2
	s_cbranch_execz .LBB20_21
; %bb.18:                               ;   in Loop: Header=BB20_11 Depth=1
	ds_load_b64 v[12:13], v2 offset:1024
	s_mov_b32 s22, exec_lo
	s_wait_dscnt 0x0
	v_cmpx_lt_f64_e32 v[10:11], v[12:13]
; %bb.19:                               ;   in Loop: Header=BB20_11 Depth=1
	v_mov_b64_e32 v[10:11], v[12:13]
	ds_store_b64 v2, v[12:13]
; %bb.20:                               ;   in Loop: Header=BB20_11 Depth=1
	s_or_b32 exec_lo, exec_lo, s22
.LBB20_21:                              ;   in Loop: Header=BB20_11 Depth=1
	s_delay_alu instid0(SALU_CYCLE_1)
	s_or_b32 exec_lo, exec_lo, s7
	s_wait_dscnt 0x0
	s_barrier_signal -1
	s_barrier_wait -1
	s_and_saveexec_b32 s7, s3
	s_cbranch_execz .LBB20_25
; %bb.22:                               ;   in Loop: Header=BB20_11 Depth=1
	ds_load_b64 v[12:13], v2 offset:512
	s_mov_b32 s22, exec_lo
	s_wait_dscnt 0x0
	v_cmpx_lt_f64_e32 v[10:11], v[12:13]
; %bb.23:                               ;   in Loop: Header=BB20_11 Depth=1
	v_mov_b64_e32 v[10:11], v[12:13]
	ds_store_b64 v2, v[12:13]
; %bb.24:                               ;   in Loop: Header=BB20_11 Depth=1
	s_or_b32 exec_lo, exec_lo, s22
.LBB20_25:                              ;   in Loop: Header=BB20_11 Depth=1
	s_delay_alu instid0(SALU_CYCLE_1)
	s_or_b32 exec_lo, exec_lo, s7
	s_wait_dscnt 0x0
	s_barrier_signal -1
	s_barrier_wait -1
	s_and_saveexec_b32 s7, s4
	s_cbranch_execz .LBB20_38
; %bb.26:                               ;   in Loop: Header=BB20_11 Depth=1
	ds_load_b64 v[12:13], v2 offset:256
	s_mov_b32 s22, exec_lo
	s_wait_dscnt 0x0
	v_cmpx_lt_f64_e32 v[10:11], v[12:13]
; %bb.27:                               ;   in Loop: Header=BB20_11 Depth=1
	v_mov_b64_e32 v[10:11], v[12:13]
	ds_store_b64 v2, v[12:13]
; %bb.28:                               ;   in Loop: Header=BB20_11 Depth=1
	s_or_b32 exec_lo, exec_lo, s22
	ds_load_b64 v[12:13], v2 offset:128
	s_mov_b32 s22, exec_lo
	s_wait_dscnt 0x0
	v_cmpx_lt_f64_e32 v[10:11], v[12:13]
; %bb.29:                               ;   in Loop: Header=BB20_11 Depth=1
	v_mov_b64_e32 v[10:11], v[12:13]
	ds_store_b64 v2, v[12:13]
; %bb.30:                               ;   in Loop: Header=BB20_11 Depth=1
	s_or_b32 exec_lo, exec_lo, s22
	;; [unrolled: 9-line block ×5, first 2 shown]
	ds_load_b64 v[12:13], v2 offset:8
	s_wait_dscnt 0x0
	v_cmp_lt_f64_e32 vcc_lo, v[10:11], v[12:13]
	s_and_b32 exec_lo, exec_lo, vcc_lo
; %bb.37:                               ;   in Loop: Header=BB20_11 Depth=1
	ds_store_b64 v2, v[12:13]
.LBB20_38:                              ;   in Loop: Header=BB20_11 Depth=1
	s_or_b32 exec_lo, exec_lo, s7
	v_mov_b64_e32 v[10:11], 0
	s_mov_b32 s22, exec_lo
	s_wait_dscnt 0x0
	s_barrier_signal -1
	s_barrier_wait -1
	v_cmpx_gt_i32_e64 s56, v0
	s_cbranch_execz .LBB20_42
; %bb.39:                               ;   in Loop: Header=BB20_11 Depth=1
	v_mov_b64_e32 v[10:11], 0
	v_lshl_add_u64 v[12:13], s[60:61], 3, v[8:9]
	v_mov_b32_e32 v14, v0
	s_mov_b32 s23, 0
.LBB20_40:                              ;   Parent Loop BB20_11 Depth=1
                                        ; =>  This Inner Loop Header: Depth=2
	global_load_b64 v[16:17], v[12:13], off
	s_wait_xcnt 0x0
	v_add_nc_u64_e32 v[12:13], 0x800, v[12:13]
	s_wait_loadcnt 0x0
	v_cmp_lt_f64_e64 vcc_lo, v[10:11], |v[16:17]|
	v_and_b32_e32 v15, 0x7fffffff, v17
	s_delay_alu instid0(VALU_DEP_1) | instskip(NEXT) | instid1(VALU_DEP_1)
	v_dual_cndmask_b32 v11, v11, v15 :: v_dual_add_nc_u32 v14, 0x100, v14
	v_cmp_le_i32_e64 s7, s56, v14
	v_cndmask_b32_e32 v10, v10, v16, vcc_lo
	s_or_b32 s23, s7, s23
	s_delay_alu instid0(SALU_CYCLE_1)
	s_and_not1_b32 exec_lo, exec_lo, s23
	s_cbranch_execnz .LBB20_40
; %bb.41:                               ;   in Loop: Header=BB20_11 Depth=1
	s_or_b32 exec_lo, exec_lo, s23
.LBB20_42:                              ;   in Loop: Header=BB20_11 Depth=1
	s_delay_alu instid0(SALU_CYCLE_1)
	s_or_b32 exec_lo, exec_lo, s22
	s_cmp_lt_i32 s56, 2
	ds_store_b64 v2, v[10:11] offset:8
	s_wait_dscnt 0x0
	s_barrier_signal -1
	s_barrier_wait -1
	s_cbranch_scc1 .LBB20_65
; %bb.43:                               ;   in Loop: Header=BB20_11 Depth=1
	s_and_saveexec_b32 s7, s2
	s_cbranch_execz .LBB20_47
; %bb.44:                               ;   in Loop: Header=BB20_11 Depth=1
	ds_load_b64 v[12:13], v2 offset:1032
	s_mov_b32 s22, exec_lo
	s_wait_dscnt 0x0
	v_cmpx_lt_f64_e32 v[10:11], v[12:13]
; %bb.45:                               ;   in Loop: Header=BB20_11 Depth=1
	v_mov_b64_e32 v[10:11], v[12:13]
	ds_store_b64 v2, v[12:13] offset:8
; %bb.46:                               ;   in Loop: Header=BB20_11 Depth=1
	s_or_b32 exec_lo, exec_lo, s22
.LBB20_47:                              ;   in Loop: Header=BB20_11 Depth=1
	s_delay_alu instid0(SALU_CYCLE_1)
	s_or_b32 exec_lo, exec_lo, s7
	s_wait_dscnt 0x0
	s_barrier_signal -1
	s_barrier_wait -1
	s_and_saveexec_b32 s7, s3
	s_cbranch_execz .LBB20_51
; %bb.48:                               ;   in Loop: Header=BB20_11 Depth=1
	ds_load_b64 v[12:13], v2 offset:520
	s_mov_b32 s22, exec_lo
	s_wait_dscnt 0x0
	v_cmpx_lt_f64_e32 v[10:11], v[12:13]
; %bb.49:                               ;   in Loop: Header=BB20_11 Depth=1
	v_mov_b64_e32 v[10:11], v[12:13]
	ds_store_b64 v2, v[12:13] offset:8
; %bb.50:                               ;   in Loop: Header=BB20_11 Depth=1
	s_or_b32 exec_lo, exec_lo, s22
.LBB20_51:                              ;   in Loop: Header=BB20_11 Depth=1
	s_delay_alu instid0(SALU_CYCLE_1)
	s_or_b32 exec_lo, exec_lo, s7
	s_wait_dscnt 0x0
	s_barrier_signal -1
	s_barrier_wait -1
	s_and_saveexec_b32 s7, s4
	s_cbranch_execz .LBB20_64
; %bb.52:                               ;   in Loop: Header=BB20_11 Depth=1
	ds_load_b64 v[12:13], v2 offset:264
	s_mov_b32 s22, exec_lo
	s_wait_dscnt 0x0
	v_cmpx_lt_f64_e32 v[10:11], v[12:13]
; %bb.53:                               ;   in Loop: Header=BB20_11 Depth=1
	v_mov_b64_e32 v[10:11], v[12:13]
	ds_store_b64 v2, v[12:13] offset:8
; %bb.54:                               ;   in Loop: Header=BB20_11 Depth=1
	s_or_b32 exec_lo, exec_lo, s22
	ds_load_b64 v[12:13], v2 offset:136
	s_mov_b32 s22, exec_lo
	s_wait_dscnt 0x0
	v_cmpx_lt_f64_e32 v[10:11], v[12:13]
; %bb.55:                               ;   in Loop: Header=BB20_11 Depth=1
	v_mov_b64_e32 v[10:11], v[12:13]
	ds_store_b64 v2, v[12:13] offset:8
; %bb.56:                               ;   in Loop: Header=BB20_11 Depth=1
	s_or_b32 exec_lo, exec_lo, s22
	;; [unrolled: 9-line block ×5, first 2 shown]
	ds_load_b64 v[12:13], v2 offset:16
	s_wait_dscnt 0x0
	v_cmp_lt_f64_e32 vcc_lo, v[10:11], v[12:13]
	s_and_b32 exec_lo, exec_lo, vcc_lo
; %bb.63:                               ;   in Loop: Header=BB20_11 Depth=1
	ds_store_b64 v2, v[12:13] offset:8
.LBB20_64:                              ;   in Loop: Header=BB20_11 Depth=1
	s_or_b32 exec_lo, exec_lo, s7
.LBB20_65:                              ;   in Loop: Header=BB20_11 Depth=1
	s_lshl_b64 s[62:63], s[60:61], 3
	s_wait_dscnt 0x0
	s_add_nc_u64 s[70:71], s[24:25], s[62:63]
	s_add_nc_u64 s[78:79], s[20:21], s[62:63]
	s_barrier_signal -1
	s_barrier_wait -1
	s_and_saveexec_b32 s22, s5
	s_cbranch_execz .LBB20_79
; %bb.66:                               ;   in Loop: Header=BB20_11 Depth=1
	v_mov_b32_e32 v12, s58
	s_ashr_i32 s57, s56, 31
	s_clause 0x1
	global_load_b64 v[10:11], v3, s[78:79]
	global_load_b64 v[12:13], v12, s[20:21] scale_offset
	s_lshl_b64 s[26:27], s[56:57], 3
	s_delay_alu instid0(SALU_CYCLE_1)
	s_add_nc_u64 s[26:27], s[78:79], s[26:27]
	s_wait_loadcnt 0x0
	v_cmp_ge_f64_e64 s7, |v[10:11]|, |v[12:13]|
	v_and_b32_e32 v11, 0x7fffffff, v11
	v_and_b32_e32 v13, 0x7fffffff, v13
	s_and_b32 s23, s7, exec_lo
	s_cselect_b32 s27, s79, s27
	s_cselect_b32 s26, s78, s26
	v_cndmask_b32_e64 v18, 0, 1, s7
	global_load_b64 v[14:15], v3, s[26:27]
	s_not_b32 s23, s60
	s_wait_xcnt 0x0
	s_mov_b32 s27, 0
	s_add_co_i32 s23, s23, s58
	ds_store_b32 v3, v18 offset:2064
	s_wait_loadcnt 0x0
	v_and_b32_e32 v15, 0x7fffffff, v15
	s_delay_alu instid0(VALU_DEP_1)
	v_mov_b64_e32 v[16:17], v[14:15]
	s_branch .LBB20_68
.LBB20_67:                              ;   in Loop: Header=BB20_68 Depth=2
	s_wait_xcnt 0x0
	v_add_f64_e64 v[18:19], v[16:17], |v[18:19]|
	s_add_co_i32 s27, s27, 1
	s_and_b32 s44, s7, exec_lo
	s_cselect_b32 s44, s27, s23
	s_add_co_i32 s23, s23, -1
	s_delay_alu instid0(SALU_CYCLE_1) | instskip(SKIP_1) | instid1(VALU_DEP_1)
	s_cmp_eq_u32 s23, -1
	s_cselect_b32 s45, -1, 0
	v_div_scale_f64 v[20:21], null, v[18:19], v[18:19], v[16:17]
	s_delay_alu instid0(VALU_DEP_1) | instskip(SKIP_1) | instid1(TRANS32_DEP_1)
	v_rcp_f64_e32 v[28:29], v[20:21]
	v_nop
	v_fma_f64 v[30:31], -v[20:21], v[28:29], 1.0
	s_delay_alu instid0(VALU_DEP_1) | instskip(NEXT) | instid1(VALU_DEP_1)
	v_fmac_f64_e32 v[28:29], v[28:29], v[30:31]
	v_fma_f64 v[30:31], -v[20:21], v[28:29], 1.0
	s_delay_alu instid0(VALU_DEP_1) | instskip(SKIP_3) | instid1(VALU_DEP_2)
	v_fmac_f64_e32 v[28:29], v[28:29], v[30:31]
	v_div_scale_f64 v[30:31], vcc_lo, v[16:17], v[18:19], v[16:17]
	v_mov_b32_e32 v25, s44
	s_mov_b32 s44, 0
	v_mul_f64_e32 v[32:33], v[30:31], v[28:29]
	global_load_b64 v[26:27], v25, s[78:79] scale_offset
	v_fma_f64 v[20:21], -v[20:21], v[32:33], v[30:31]
	s_delay_alu instid0(VALU_DEP_1) | instskip(NEXT) | instid1(VALU_DEP_1)
	v_div_fmas_f64 v[20:21], v[20:21], v[28:29], v[32:33]
	v_div_fixup_f64 v[16:17], v[20:21], v[18:19], v[16:17]
	s_wait_loadcnt 0x0
	s_delay_alu instid0(VALU_DEP_1) | instskip(NEXT) | instid1(VALU_DEP_1)
	v_mul_f64_e64 v[16:17], v[16:17], |v[26:27]|
	v_cmp_lt_f64_e32 vcc_lo, v[16:17], v[14:15]
	v_dual_cndmask_b32 v15, v15, v17 :: v_dual_cndmask_b32 v14, v14, v16
	s_and_not1_b32 vcc_lo, exec_lo, s45
	s_cbranch_vccz .LBB20_70
.LBB20_68:                              ;   Parent Loop BB20_11 Depth=1
                                        ; =>  This Inner Loop Header: Depth=2
	s_and_b32 s26, s7, exec_lo
	s_cselect_b32 s26, s27, s23
	s_wait_xcnt 0x0
	s_delay_alu instid0(VALU_DEP_1)
	v_dual_mul_f64 v[20:21], s[12:13], v[16:17] :: v_dual_mov_b32 v18, s26
	global_load_b64 v[18:19], v18, s[70:71] scale_offset
	s_wait_loadcnt 0x0
	v_cmp_nle_f64_e64 s44, |v[18:19]|, v[20:21]
	s_and_b32 vcc_lo, exec_lo, s44
	s_cbranch_vccnz .LBB20_67
; %bb.69:                               ;   in Loop: Header=BB20_11 Depth=1
	s_mov_b32 s44, -1
                                        ; implicit-def: $vgpr16_vgpr17
                                        ; implicit-def: $sgpr23
                                        ; implicit-def: $sgpr27
                                        ; implicit-def: $vgpr14_vgpr15
.LBB20_70:                              ;   in Loop: Header=BB20_11 Depth=1
	s_delay_alu instid0(SALU_CYCLE_1)
	s_and_b32 vcc_lo, exec_lo, s44
	s_cbranch_vccz .LBB20_72
; %bb.71:                               ;   in Loop: Header=BB20_11 Depth=1
	v_mov_b64_e32 v[14:15], -1.0
	s_ashr_i32 s27, s26, 31
	s_delay_alu instid0(SALU_CYCLE_1) | instskip(NEXT) | instid1(SALU_CYCLE_1)
	s_lshl_b64 s[26:27], s[26:27], 3
	s_add_nc_u64 s[26:27], s[70:71], s[26:27]
	global_store_b64 v3, v[4:5], s[26:27]
.LBB20_72:                              ;   in Loop: Header=BB20_11 Depth=1
	v_cmp_nle_f64_e32 vcc_lo, 0, v[14:15]
	ds_store_b64 v3, v[14:15] offset:2056
	ds_store_b8 v3, v3 offset:2068
	s_cbranch_vccnz .LBB20_79
; %bb.73:                               ;   in Loop: Header=BB20_11 Depth=1
	s_wait_xcnt 0x0
	ds_load_b128 v[16:19], v3
	s_mov_b32 s23, -1
	s_wait_dscnt 0x0
	v_cmp_lt_f64_e32 vcc_lo, v[16:17], v[18:19]
	v_dual_cndmask_b32 v17, v17, v19 :: v_dual_cndmask_b32 v16, v16, v18
	s_delay_alu instid0(VALU_DEP_1) | instskip(NEXT) | instid1(VALU_DEP_1)
	v_div_scale_f64 v[18:19], null, v[16:17], v[16:17], v[14:15]
	v_rcp_f64_e32 v[20:21], v[18:19]
	v_nop
	s_delay_alu instid0(TRANS32_DEP_1) | instskip(NEXT) | instid1(VALU_DEP_1)
	v_fma_f64 v[26:27], -v[18:19], v[20:21], 1.0
	v_fmac_f64_e32 v[20:21], v[20:21], v[26:27]
	s_delay_alu instid0(VALU_DEP_1) | instskip(NEXT) | instid1(VALU_DEP_1)
	v_fma_f64 v[26:27], -v[18:19], v[20:21], 1.0
	v_fmac_f64_e32 v[20:21], v[20:21], v[26:27]
	v_div_scale_f64 v[26:27], vcc_lo, v[14:15], v[16:17], v[14:15]
	s_delay_alu instid0(VALU_DEP_1) | instskip(NEXT) | instid1(VALU_DEP_1)
	v_mul_f64_e32 v[28:29], v[26:27], v[20:21]
	v_fma_f64 v[18:19], -v[18:19], v[28:29], v[26:27]
	s_delay_alu instid0(VALU_DEP_1) | instskip(NEXT) | instid1(VALU_DEP_1)
	v_div_fmas_f64 v[18:19], v[18:19], v[20:21], v[28:29]
	v_div_fixup_f64 v[16:17], v[18:19], v[16:17], v[14:15]
	s_delay_alu instid0(VALU_DEP_1)
	v_cmp_ge_f64_e32 vcc_lo, s[14:15], v[16:17]
	s_cbranch_vccnz .LBB20_76
; %bb.74:                               ;   in Loop: Header=BB20_11 Depth=1
	v_dual_cndmask_b32 v11, v13, v11, s7 :: v_dual_cndmask_b32 v10, v12, v10, s7
	s_mov_b32 s23, 0
	s_delay_alu instid0(VALU_DEP_1)
	v_cmp_lt_f64_e32 vcc_lo, 0, v[10:11]
	s_cbranch_vccz .LBB20_76
; %bb.75:                               ;   in Loop: Header=BB20_11 Depth=1
	v_mul_f64_e32 v[12:13], v[14:15], v[14:15]
	s_wait_xcnt 0x0
	v_readlane_b32 s26, v34, 0
	v_readlane_b32 s27, v34, 1
	s_delay_alu instid0(VALU_DEP_3) | instskip(SKIP_1) | instid1(VALU_DEP_2)
	v_div_scale_f64 v[14:15], null, v[10:11], v[10:11], v[12:13]
	v_div_scale_f64 v[20:21], vcc_lo, v[12:13], v[10:11], v[12:13]
	v_rcp_f64_e32 v[16:17], v[14:15]
	v_nop
	s_delay_alu instid0(TRANS32_DEP_1) | instskip(NEXT) | instid1(VALU_DEP_1)
	v_fma_f64 v[18:19], -v[14:15], v[16:17], 1.0
	v_fmac_f64_e32 v[16:17], v[16:17], v[18:19]
	s_delay_alu instid0(VALU_DEP_1) | instskip(NEXT) | instid1(VALU_DEP_1)
	v_fma_f64 v[18:19], -v[14:15], v[16:17], 1.0
	v_fmac_f64_e32 v[16:17], v[16:17], v[18:19]
	s_delay_alu instid0(VALU_DEP_1) | instskip(NEXT) | instid1(VALU_DEP_1)
	v_mul_f64_e32 v[18:19], v[20:21], v[16:17]
	v_fma_f64 v[14:15], -v[14:15], v[18:19], v[20:21]
	s_delay_alu instid0(VALU_DEP_1) | instskip(NEXT) | instid1(VALU_DEP_1)
	v_div_fmas_f64 v[14:15], v[14:15], v[16:17], v[18:19]
	v_div_fixup_f64 v[12:13], v[14:15], v[10:11], v[12:13]
	s_delay_alu instid0(VALU_DEP_1) | instskip(NEXT) | instid1(VALU_DEP_1)
	v_div_scale_f64 v[14:15], null, v[10:11], v[10:11], v[12:13]
	v_rcp_f64_e32 v[16:17], v[14:15]
	v_nop
	s_delay_alu instid0(TRANS32_DEP_1) | instskip(NEXT) | instid1(VALU_DEP_1)
	v_fma_f64 v[18:19], -v[14:15], v[16:17], 1.0
	v_fmac_f64_e32 v[16:17], v[16:17], v[18:19]
	s_delay_alu instid0(VALU_DEP_1) | instskip(NEXT) | instid1(VALU_DEP_1)
	v_fma_f64 v[18:19], -v[14:15], v[16:17], 1.0
	v_fmac_f64_e32 v[16:17], v[16:17], v[18:19]
	v_div_scale_f64 v[18:19], vcc_lo, v[12:13], v[10:11], v[12:13]
	s_delay_alu instid0(VALU_DEP_1) | instskip(NEXT) | instid1(VALU_DEP_1)
	v_mul_f64_e32 v[20:21], v[18:19], v[16:17]
	v_fma_f64 v[14:15], -v[14:15], v[20:21], v[18:19]
	s_delay_alu instid0(VALU_DEP_1) | instskip(NEXT) | instid1(VALU_DEP_1)
	v_div_fmas_f64 v[14:15], v[14:15], v[16:17], v[20:21]
	v_div_fixup_f64 v[10:11], v[14:15], v[10:11], v[12:13]
	s_delay_alu instid0(VALU_DEP_1)
	v_cmp_gt_f64_e64 s23, s[26:27], v[10:11]
.LBB20_76:                              ;   in Loop: Header=BB20_11 Depth=1
	s_delay_alu instid0(VALU_DEP_1)
	s_and_b32 vcc_lo, exec_lo, s23
	s_cbranch_vccz .LBB20_78
; %bb.77:                               ;   in Loop: Header=BB20_11 Depth=1
	ds_store_b64 v3, v[4:5] offset:2056
.LBB20_78:                              ;   in Loop: Header=BB20_11 Depth=1
	ds_store_b8 v3, v24 offset:2068
.LBB20_79:                              ;   in Loop: Header=BB20_11 Depth=1
	s_wait_xcnt 0x0
	s_or_b32 exec_lo, exec_lo, s22
	s_wait_storecnt_dscnt 0x0
	s_barrier_signal -1
	s_barrier_wait -1
	ds_load_u8 v10, v3 offset:2068
	s_mov_b32 s7, -1
	s_wait_dscnt 0x0
	v_cmp_eq_u32_e32 vcc_lo, 0, v10
	s_cbranch_vccz .LBB20_83
; %bb.80:                               ;   in Loop: Header=BB20_11 Depth=1
	s_and_saveexec_b32 s7, s5
	s_cbranch_execz .LBB20_82
; %bb.81:                               ;   in Loop: Header=BB20_11 Depth=1
	global_store_b32 v3, v3, s[66:67]
.LBB20_82:                              ;   in Loop: Header=BB20_11 Depth=1
	s_wait_xcnt 0x0
	s_or_b32 exec_lo, exec_lo, s7
	s_mov_b32 s7, 0
.LBB20_83:                              ;   in Loop: Header=BB20_11 Depth=1
	s_delay_alu instid0(SALU_CYCLE_1)
	s_and_not1_b32 vcc_lo, exec_lo, s7
	s_cbranch_vccnz .LBB20_10
; %bb.84:                               ;   in Loop: Header=BB20_11 Depth=1
	ds_load_b32 v10, v3 offset:2064
	s_wait_dscnt 0x0
	v_readfirstlane_b32 s64, v10
	s_and_saveexec_b32 s7, s5
	s_cbranch_execz .LBB20_86
; %bb.85:                               ;   in Loop: Header=BB20_11 Depth=1
	s_cmp_eq_u32 s64, 0
	s_cselect_b32 s22, -1, 1
	s_delay_alu instid0(SALU_CYCLE_1)
	v_mov_b32_e32 v10, s22
	global_store_b32 v3, v10, s[66:67]
.LBB20_86:                              ;   in Loop: Header=BB20_11 Depth=1
	s_wait_xcnt 0x0
	s_or_b32 exec_lo, exec_lo, s7
	s_add_co_i32 s74, s56, 1
	s_mul_i32 s66, s60, s33
	s_sub_co_i32 s72, 1, s64
	s_ashr_i32 s67, s66, 31
	s_sub_co_i32 s7, s64, s72
	s_lshl_b32 s22, s74, 1
	s_and_b32 s23, s28, exec_lo
	s_cselect_b32 s68, s22, 0
	s_and_saveexec_b32 s57, s5
	s_cbranch_execz .LBB20_149
; %bb.87:                               ;   in Loop: Header=BB20_11 Depth=1
	s_cmp_lg_u32 s64, 0
	v_mov_b64_e32 v[16:17], 0
	s_cselect_b32 s59, -1, 0
	s_delay_alu instid0(SALU_CYCLE_1) | instskip(SKIP_1) | instid1(SALU_CYCLE_1)
	s_and_b32 s22, s59, exec_lo
	s_cselect_b32 s76, 0, s56
	v_mov_b32_e32 v10, s76
	global_load_b64 v[12:13], v10, s[78:79] scale_offset
	s_wait_xcnt 0x0
	v_mov_b64_e32 v[10:11], 0
	s_wait_loadcnt 0x0
	v_cmp_eq_f64_e32 vcc_lo, 0, v[12:13]
	s_cbranch_vccnz .LBB20_89
; %bb.88:                               ;   in Loop: Header=BB20_11 Depth=1
	ds_load_b64 v[10:11], v3 offset:2056
	s_wait_dscnt 0x0
	v_div_scale_f64 v[14:15], null, v[12:13], v[12:13], v[10:11]
	s_delay_alu instid0(VALU_DEP_1) | instskip(SKIP_1) | instid1(TRANS32_DEP_1)
	v_rcp_f64_e32 v[18:19], v[14:15]
	v_nop
	v_fma_f64 v[20:21], -v[14:15], v[18:19], 1.0
	s_delay_alu instid0(VALU_DEP_1) | instskip(NEXT) | instid1(VALU_DEP_1)
	v_fmac_f64_e32 v[18:19], v[18:19], v[20:21]
	v_fma_f64 v[20:21], -v[14:15], v[18:19], 1.0
	s_delay_alu instid0(VALU_DEP_1) | instskip(SKIP_1) | instid1(VALU_DEP_1)
	v_fmac_f64_e32 v[18:19], v[18:19], v[20:21]
	v_div_scale_f64 v[20:21], vcc_lo, v[10:11], v[12:13], v[10:11]
	v_mul_f64_e32 v[26:27], v[20:21], v[18:19]
	s_delay_alu instid0(VALU_DEP_1) | instskip(NEXT) | instid1(VALU_DEP_1)
	v_fma_f64 v[14:15], -v[14:15], v[26:27], v[20:21]
	v_div_fmas_f64 v[14:15], v[14:15], v[18:19], v[26:27]
	v_cmp_lt_f64_e32 vcc_lo, 0, v[12:13]
	s_delay_alu instid0(VALU_DEP_2) | instskip(SKIP_3) | instid1(VALU_DEP_3)
	v_div_fixup_f64 v[14:15], v[14:15], v[12:13], v[10:11]
	v_cndmask_b32_e64 v18, 0, 1, vcc_lo
	v_cmp_gt_f64_e32 vcc_lo, 0, v[12:13]
	v_add_f64_e64 v[10:11], |v[12:13]|, -v[10:11]
	v_subrev_co_ci_u32_e64 v18, null, 0, v18, vcc_lo
	s_delay_alu instid0(VALU_DEP_1) | instskip(NEXT) | instid1(VALU_DEP_1)
	v_cvt_f64_i32_e32 v[18:19], v18
	v_add_f64_e32 v[14:15], v[14:15], v[18:19]
	s_delay_alu instid0(VALU_DEP_1)
	v_mul_f64_e32 v[10:11], v[10:11], v[14:15]
.LBB20_89:                              ;   in Loop: Header=BB20_11 Depth=1
	s_ashr_i32 s77, s76, 31
	s_ashr_i32 s65, s64, 31
	s_delay_alu instid0(SALU_CYCLE_1) | instskip(NEXT) | instid1(SALU_CYCLE_1)
	s_add_nc_u64 s[80:81], s[76:77], s[64:65]
	s_lshl_b64 s[26:27], s[80:81], 3
	s_delay_alu instid0(SALU_CYCLE_1)
	s_add_nc_u64 s[82:83], s[70:71], s[26:27]
	global_load_b64 v[14:15], v3, s[82:83] offset:-8
	s_wait_loadcnt 0x0
	v_cmp_eq_f64_e32 vcc_lo, 0, v[14:15]
	s_cbranch_vccnz .LBB20_93
; %bb.90:                               ;   in Loop: Header=BB20_11 Depth=1
	v_cmp_eq_f64_e32 vcc_lo, 0, v[10:11]
	s_cbranch_vccnz .LBB20_94
; %bb.91:                               ;   in Loop: Header=BB20_11 Depth=1
	v_cmp_gt_f64_e64 s22, |v[14:15]|, |v[10:11]|
	s_and_b32 vcc_lo, exec_lo, s22
	s_cbranch_vccnz .LBB20_95
; %bb.92:                               ;   in Loop: Header=BB20_11 Depth=1
	v_div_scale_f64 v[16:17], null, v[10:11], v[10:11], -v[14:15]
	v_div_scale_f64 v[26:27], vcc_lo, -v[14:15], v[10:11], -v[14:15]
	s_delay_alu instid0(VALU_DEP_2) | instskip(SKIP_1) | instid1(TRANS32_DEP_1)
	v_rcp_f64_e32 v[18:19], v[16:17]
	v_nop
	v_fma_f64 v[20:21], -v[16:17], v[18:19], 1.0
	s_delay_alu instid0(VALU_DEP_1) | instskip(NEXT) | instid1(VALU_DEP_1)
	v_fmac_f64_e32 v[18:19], v[18:19], v[20:21]
	v_fma_f64 v[20:21], -v[16:17], v[18:19], 1.0
	s_delay_alu instid0(VALU_DEP_1) | instskip(NEXT) | instid1(VALU_DEP_1)
	v_fmac_f64_e32 v[18:19], v[18:19], v[20:21]
	v_mul_f64_e32 v[20:21], v[26:27], v[18:19]
	s_delay_alu instid0(VALU_DEP_1) | instskip(NEXT) | instid1(VALU_DEP_1)
	v_fma_f64 v[16:17], -v[16:17], v[20:21], v[26:27]
	v_div_fmas_f64 v[16:17], v[16:17], v[18:19], v[20:21]
	s_delay_alu instid0(VALU_DEP_1) | instskip(NEXT) | instid1(VALU_DEP_1)
	v_div_fixup_f64 v[16:17], v[16:17], v[10:11], -v[14:15]
	v_fma_f64 v[18:19], v[16:17], v[16:17], 1.0
	s_delay_alu instid0(VALU_DEP_1) | instskip(SKIP_2) | instid1(SALU_CYCLE_1)
	v_cmp_gt_f64_e32 vcc_lo, 0x10000000, v[18:19]
	s_and_b32 s22, vcc_lo, exec_lo
	s_cselect_b32 s22, 0x100, 0
	v_ldexp_f64 v[18:19], v[18:19], s22
	s_cselect_b32 s22, 0xffffff80, 0
	s_delay_alu instid0(VALU_DEP_1) | instskip(SKIP_1) | instid1(TRANS32_DEP_1)
	v_rsq_f64_e32 v[20:21], v[18:19]
	v_cmp_class_f64_e64 vcc_lo, v[18:19], 0x260
	v_mul_f64_e32 v[26:27], v[18:19], v[20:21]
	v_mul_f64_e32 v[20:21], 0.5, v[20:21]
	s_delay_alu instid0(VALU_DEP_1) | instskip(NEXT) | instid1(VALU_DEP_1)
	v_fma_f64 v[28:29], -v[20:21], v[26:27], 0.5
	v_fmac_f64_e32 v[26:27], v[26:27], v[28:29]
	v_fmac_f64_e32 v[20:21], v[20:21], v[28:29]
	s_delay_alu instid0(VALU_DEP_2) | instskip(NEXT) | instid1(VALU_DEP_1)
	v_fma_f64 v[28:29], -v[26:27], v[26:27], v[18:19]
	v_fmac_f64_e32 v[26:27], v[28:29], v[20:21]
	s_delay_alu instid0(VALU_DEP_1) | instskip(NEXT) | instid1(VALU_DEP_1)
	v_fma_f64 v[28:29], -v[26:27], v[26:27], v[18:19]
	v_fmac_f64_e32 v[26:27], v[28:29], v[20:21]
	s_delay_alu instid0(VALU_DEP_1) | instskip(NEXT) | instid1(VALU_DEP_1)
	v_ldexp_f64 v[20:21], v[26:27], s22
	v_dual_cndmask_b32 v19, v21, v19 :: v_dual_cndmask_b32 v18, v20, v18
	s_delay_alu instid0(VALU_DEP_1) | instskip(NEXT) | instid1(VALU_DEP_1)
	v_div_scale_f64 v[20:21], null, v[18:19], v[18:19], 1.0
	v_rcp_f64_e32 v[26:27], v[20:21]
	v_nop
	s_delay_alu instid0(TRANS32_DEP_1) | instskip(NEXT) | instid1(VALU_DEP_1)
	v_fma_f64 v[28:29], -v[20:21], v[26:27], 1.0
	v_fmac_f64_e32 v[26:27], v[26:27], v[28:29]
	s_delay_alu instid0(VALU_DEP_1) | instskip(NEXT) | instid1(VALU_DEP_1)
	v_fma_f64 v[28:29], -v[20:21], v[26:27], 1.0
	v_fmac_f64_e32 v[26:27], v[26:27], v[28:29]
	v_div_scale_f64 v[28:29], vcc_lo, 1.0, v[18:19], 1.0
	s_delay_alu instid0(VALU_DEP_1) | instskip(NEXT) | instid1(VALU_DEP_1)
	v_mul_f64_e32 v[30:31], v[28:29], v[26:27]
	v_fma_f64 v[20:21], -v[20:21], v[30:31], v[28:29]
	s_delay_alu instid0(VALU_DEP_1) | instskip(NEXT) | instid1(VALU_DEP_1)
	v_div_fmas_f64 v[20:21], v[20:21], v[26:27], v[30:31]
	v_div_fixup_f64 v[18:19], v[20:21], v[18:19], 1.0
	s_delay_alu instid0(VALU_DEP_1)
	v_mul_f64_e32 v[16:17], v[16:17], v[18:19]
	s_cbranch_execz .LBB20_96
	s_branch .LBB20_97
.LBB20_93:                              ;   in Loop: Header=BB20_11 Depth=1
	v_mov_b64_e32 v[18:19], 1.0
	s_branch .LBB20_97
.LBB20_94:                              ;   in Loop: Header=BB20_11 Depth=1
	v_mov_b64_e32 v[18:19], 0
	v_mov_b64_e32 v[16:17], 1.0
	s_branch .LBB20_97
.LBB20_95:                              ;   in Loop: Header=BB20_11 Depth=1
                                        ; implicit-def: $vgpr16_vgpr17
                                        ; implicit-def: $vgpr18_vgpr19
.LBB20_96:                              ;   in Loop: Header=BB20_11 Depth=1
	v_div_scale_f64 v[16:17], null, v[14:15], v[14:15], -v[10:11]
	v_div_scale_f64 v[26:27], vcc_lo, -v[10:11], v[14:15], -v[10:11]
	s_delay_alu instid0(VALU_DEP_2) | instskip(SKIP_1) | instid1(TRANS32_DEP_1)
	v_rcp_f64_e32 v[18:19], v[16:17]
	v_nop
	v_fma_f64 v[20:21], -v[16:17], v[18:19], 1.0
	s_delay_alu instid0(VALU_DEP_1) | instskip(NEXT) | instid1(VALU_DEP_1)
	v_fmac_f64_e32 v[18:19], v[18:19], v[20:21]
	v_fma_f64 v[20:21], -v[16:17], v[18:19], 1.0
	s_delay_alu instid0(VALU_DEP_1) | instskip(NEXT) | instid1(VALU_DEP_1)
	v_fmac_f64_e32 v[18:19], v[18:19], v[20:21]
	v_mul_f64_e32 v[20:21], v[26:27], v[18:19]
	s_delay_alu instid0(VALU_DEP_1) | instskip(NEXT) | instid1(VALU_DEP_1)
	v_fma_f64 v[16:17], -v[16:17], v[20:21], v[26:27]
	v_div_fmas_f64 v[16:17], v[16:17], v[18:19], v[20:21]
	s_delay_alu instid0(VALU_DEP_1) | instskip(NEXT) | instid1(VALU_DEP_1)
	v_div_fixup_f64 v[10:11], v[16:17], v[14:15], -v[10:11]
	v_fma_f64 v[16:17], v[10:11], v[10:11], 1.0
	s_delay_alu instid0(VALU_DEP_1) | instskip(SKIP_2) | instid1(SALU_CYCLE_1)
	v_cmp_gt_f64_e32 vcc_lo, 0x10000000, v[16:17]
	s_and_b32 s22, vcc_lo, exec_lo
	s_cselect_b32 s22, 0x100, 0
	v_ldexp_f64 v[16:17], v[16:17], s22
	s_cselect_b32 s22, 0xffffff80, 0
	s_delay_alu instid0(VALU_DEP_1) | instskip(SKIP_1) | instid1(TRANS32_DEP_1)
	v_rsq_f64_e32 v[18:19], v[16:17]
	v_cmp_class_f64_e64 vcc_lo, v[16:17], 0x260
	v_mul_f64_e32 v[20:21], v[16:17], v[18:19]
	v_mul_f64_e32 v[18:19], 0.5, v[18:19]
	s_delay_alu instid0(VALU_DEP_1) | instskip(NEXT) | instid1(VALU_DEP_1)
	v_fma_f64 v[26:27], -v[18:19], v[20:21], 0.5
	v_fmac_f64_e32 v[20:21], v[20:21], v[26:27]
	v_fmac_f64_e32 v[18:19], v[18:19], v[26:27]
	s_delay_alu instid0(VALU_DEP_2) | instskip(NEXT) | instid1(VALU_DEP_1)
	v_fma_f64 v[26:27], -v[20:21], v[20:21], v[16:17]
	v_fmac_f64_e32 v[20:21], v[26:27], v[18:19]
	s_delay_alu instid0(VALU_DEP_1) | instskip(NEXT) | instid1(VALU_DEP_1)
	v_fma_f64 v[26:27], -v[20:21], v[20:21], v[16:17]
	v_fmac_f64_e32 v[20:21], v[26:27], v[18:19]
	s_delay_alu instid0(VALU_DEP_1) | instskip(NEXT) | instid1(VALU_DEP_1)
	v_ldexp_f64 v[18:19], v[20:21], s22
	v_dual_cndmask_b32 v17, v19, v17 :: v_dual_cndmask_b32 v16, v18, v16
	s_delay_alu instid0(VALU_DEP_1) | instskip(NEXT) | instid1(VALU_DEP_1)
	v_div_scale_f64 v[18:19], null, v[16:17], v[16:17], 1.0
	v_rcp_f64_e32 v[20:21], v[18:19]
	v_nop
	s_delay_alu instid0(TRANS32_DEP_1) | instskip(NEXT) | instid1(VALU_DEP_1)
	v_fma_f64 v[26:27], -v[18:19], v[20:21], 1.0
	v_fmac_f64_e32 v[20:21], v[20:21], v[26:27]
	s_delay_alu instid0(VALU_DEP_1) | instskip(NEXT) | instid1(VALU_DEP_1)
	v_fma_f64 v[26:27], -v[18:19], v[20:21], 1.0
	v_fmac_f64_e32 v[20:21], v[20:21], v[26:27]
	v_div_scale_f64 v[26:27], vcc_lo, 1.0, v[16:17], 1.0
	s_delay_alu instid0(VALU_DEP_1) | instskip(NEXT) | instid1(VALU_DEP_1)
	v_mul_f64_e32 v[28:29], v[26:27], v[20:21]
	v_fma_f64 v[18:19], -v[18:19], v[28:29], v[26:27]
	s_delay_alu instid0(VALU_DEP_1) | instskip(NEXT) | instid1(VALU_DEP_1)
	v_div_fmas_f64 v[18:19], v[18:19], v[20:21], v[28:29]
	v_div_fixup_f64 v[16:17], v[18:19], v[16:17], 1.0
	s_delay_alu instid0(VALU_DEP_1)
	v_mul_f64_e32 v[18:19], v[10:11], v[16:17]
.LBB20_97:                              ;   in Loop: Header=BB20_11 Depth=1
	s_delay_alu instid0(VALU_DEP_1)
	v_mul_f64_e32 v[10:11], v[12:13], v[16:17]
	s_sub_nc_u64 s[22:23], 0, s[64:65]
	s_lshl_b64 s[44:45], s[76:77], 3
	s_sub_nc_u64 s[84:85], s[64:65], s[22:23]
	s_add_nc_u64 s[92:93], s[78:79], s[44:45]
	s_lshl_b64 s[22:23], s[84:85], 3
	s_lshl_b64 s[78:79], s[66:67], 3
	s_add_nc_u64 s[90:91], s[92:93], s[22:23]
	s_and_b32 s22, s28, s59
	s_add_nc_u64 s[86:87], s[18:19], s[78:79]
	v_cndmask_b32_e64 v20, 0, 1, s22
	s_and_not1_b32 vcc_lo, exec_lo, s22
	s_add_nc_u64 s[88:89], s[86:87], s[26:27]
	s_delay_alu instid0(VALU_DEP_2)
	v_fmac_f64_e32 v[10:11], v[14:15], v[18:19]
	s_clause 0x1
	global_store_b64 v3, v[10:11], s[82:83] offset:-8
	global_load_b64 v[10:11], v3, s[90:91] offset:-8
	s_wait_loadcnt 0x0
	v_mul_f64_e32 v[26:27], v[18:19], v[10:11]
	global_store_b64 v3, v[26:27], s[90:91] offset:-8
	s_cbranch_vccnz .LBB20_99
; %bb.98:                               ;   in Loop: Header=BB20_11 Depth=1
	v_mov_b32_e32 v21, s74
	s_clause 0x1
	global_store_b64 v3, v[18:19], s[88:89] offset:24
	global_store_b64 v21, v[16:17], s[88:89] offset:24 scale_offset
.LBB20_99:                              ;   in Loop: Header=BB20_11 Depth=1
	s_cmp_lg_u32 s64, 1
	s_cselect_b32 s23, -1, 0
	s_cmp_eq_u32 s64, 1
	s_cselect_b32 s22, -1, 0
	s_delay_alu instid0(SALU_CYCLE_1) | instskip(NEXT) | instid1(SALU_CYCLE_1)
	s_or_b32 s22, s104, s22
	s_and_b32 vcc_lo, exec_lo, s22
	s_cbranch_vccnz .LBB20_101
; %bb.100:                              ;   in Loop: Header=BB20_11 Depth=1
	s_ashr_i32 s69, s68, 31
	s_wait_xcnt 0x0
	v_mov_b32_e32 v21, s74
	s_add_nc_u64 s[26:27], s[80:81], s[68:69]
	s_delay_alu instid0(SALU_CYCLE_1) | instskip(NEXT) | instid1(SALU_CYCLE_1)
	s_lshl_b64 s[26:27], s[26:27], 3
	s_add_nc_u64 s[26:27], s[86:87], s[26:27]
	s_clause 0x1
	global_store_b64 v3, v[18:19], s[26:27] offset:24
	global_store_b64 v21, v[16:17], s[26:27] offset:24 scale_offset
.LBB20_101:                             ;   in Loop: Header=BB20_11 Depth=1
	v_mul_f64_e64 v[10:11], v[10:11], -v[16:17]
	v_mul_f64_e32 v[14:15], v[14:15], v[16:17]
	s_delay_alu instid0(VALU_DEP_2) | instskip(NEXT) | instid1(VALU_DEP_2)
	v_cmp_eq_f64_e32 vcc_lo, 0, v[10:11]
	v_fma_f64 v[12:13], v[12:13], v[18:19], -v[14:15]
	s_cbranch_vccnz .LBB20_105
; %bb.102:                              ;   in Loop: Header=BB20_11 Depth=1
	s_delay_alu instid0(VALU_DEP_1)
	v_cmp_eq_f64_e32 vcc_lo, 0, v[12:13]
	s_cbranch_vccnz .LBB20_106
; %bb.103:                              ;   in Loop: Header=BB20_11 Depth=1
	s_wait_xcnt 0x0
	v_cmp_gt_f64_e64 s26, |v[10:11]|, |v[12:13]|
	s_and_b32 vcc_lo, exec_lo, s26
	s_cbranch_vccnz .LBB20_107
; %bb.104:                              ;   in Loop: Header=BB20_11 Depth=1
	v_div_scale_f64 v[14:15], null, v[12:13], v[12:13], -v[10:11]
	v_div_scale_f64 v[26:27], vcc_lo, -v[10:11], v[12:13], -v[10:11]
	s_delay_alu instid0(VALU_DEP_2) | instskip(SKIP_1) | instid1(TRANS32_DEP_1)
	v_rcp_f64_e32 v[16:17], v[14:15]
	v_nop
	v_fma_f64 v[18:19], -v[14:15], v[16:17], 1.0
	s_delay_alu instid0(VALU_DEP_1) | instskip(NEXT) | instid1(VALU_DEP_1)
	v_fmac_f64_e32 v[16:17], v[16:17], v[18:19]
	v_fma_f64 v[18:19], -v[14:15], v[16:17], 1.0
	s_delay_alu instid0(VALU_DEP_1) | instskip(NEXT) | instid1(VALU_DEP_1)
	v_fmac_f64_e32 v[16:17], v[16:17], v[18:19]
	v_mul_f64_e32 v[18:19], v[26:27], v[16:17]
	s_delay_alu instid0(VALU_DEP_1) | instskip(NEXT) | instid1(VALU_DEP_1)
	v_fma_f64 v[14:15], -v[14:15], v[18:19], v[26:27]
	v_div_fmas_f64 v[14:15], v[14:15], v[16:17], v[18:19]
	s_delay_alu instid0(VALU_DEP_1) | instskip(NEXT) | instid1(VALU_DEP_1)
	v_div_fixup_f64 v[16:17], v[14:15], v[12:13], -v[10:11]
	v_fma_f64 v[14:15], v[16:17], v[16:17], 1.0
	s_delay_alu instid0(VALU_DEP_1) | instskip(SKIP_2) | instid1(SALU_CYCLE_1)
	v_cmp_gt_f64_e32 vcc_lo, 0x10000000, v[14:15]
	s_and_b32 s26, vcc_lo, exec_lo
	s_cselect_b32 s26, 0x100, 0
	v_ldexp_f64 v[14:15], v[14:15], s26
	s_cselect_b32 s26, 0xffffff80, 0
	s_delay_alu instid0(VALU_DEP_1) | instskip(SKIP_1) | instid1(TRANS32_DEP_1)
	v_rsq_f64_e32 v[18:19], v[14:15]
	v_cmp_class_f64_e64 vcc_lo, v[14:15], 0x260
	v_mul_f64_e32 v[26:27], v[14:15], v[18:19]
	v_mul_f64_e32 v[18:19], 0.5, v[18:19]
	s_delay_alu instid0(VALU_DEP_1) | instskip(NEXT) | instid1(VALU_DEP_1)
	v_fma_f64 v[28:29], -v[18:19], v[26:27], 0.5
	v_fmac_f64_e32 v[26:27], v[26:27], v[28:29]
	v_fmac_f64_e32 v[18:19], v[18:19], v[28:29]
	s_delay_alu instid0(VALU_DEP_2) | instskip(NEXT) | instid1(VALU_DEP_1)
	v_fma_f64 v[28:29], -v[26:27], v[26:27], v[14:15]
	v_fmac_f64_e32 v[26:27], v[28:29], v[18:19]
	s_delay_alu instid0(VALU_DEP_1) | instskip(NEXT) | instid1(VALU_DEP_1)
	v_fma_f64 v[28:29], -v[26:27], v[26:27], v[14:15]
	v_fmac_f64_e32 v[26:27], v[28:29], v[18:19]
	s_delay_alu instid0(VALU_DEP_1) | instskip(NEXT) | instid1(VALU_DEP_1)
	v_ldexp_f64 v[18:19], v[26:27], s26
	v_dual_cndmask_b32 v15, v19, v15 :: v_dual_cndmask_b32 v14, v18, v14
	s_delay_alu instid0(VALU_DEP_1) | instskip(NEXT) | instid1(VALU_DEP_1)
	v_div_scale_f64 v[18:19], null, v[14:15], v[14:15], 1.0
	v_rcp_f64_e32 v[26:27], v[18:19]
	v_nop
	s_delay_alu instid0(TRANS32_DEP_1) | instskip(NEXT) | instid1(VALU_DEP_1)
	v_fma_f64 v[28:29], -v[18:19], v[26:27], 1.0
	v_fmac_f64_e32 v[26:27], v[26:27], v[28:29]
	s_delay_alu instid0(VALU_DEP_1) | instskip(NEXT) | instid1(VALU_DEP_1)
	v_fma_f64 v[28:29], -v[18:19], v[26:27], 1.0
	v_fmac_f64_e32 v[26:27], v[26:27], v[28:29]
	v_div_scale_f64 v[28:29], vcc_lo, 1.0, v[14:15], 1.0
	s_delay_alu instid0(VALU_DEP_1) | instskip(NEXT) | instid1(VALU_DEP_1)
	v_mul_f64_e32 v[30:31], v[28:29], v[26:27]
	v_fma_f64 v[18:19], -v[18:19], v[30:31], v[28:29]
	s_delay_alu instid0(VALU_DEP_1) | instskip(NEXT) | instid1(VALU_DEP_1)
	v_div_fmas_f64 v[18:19], v[18:19], v[26:27], v[30:31]
	v_div_fixup_f64 v[14:15], v[18:19], v[14:15], 1.0
	s_delay_alu instid0(VALU_DEP_1)
	v_mul_f64_e32 v[16:17], v[16:17], v[14:15]
	s_cbranch_execz .LBB20_108
	s_branch .LBB20_109
.LBB20_105:                             ;   in Loop: Header=BB20_11 Depth=1
	v_mov_b64_e32 v[14:15], 1.0
	s_wait_xcnt 0x0
	v_mov_b64_e32 v[16:17], 0
	s_branch .LBB20_111
.LBB20_106:                             ;   in Loop: Header=BB20_11 Depth=1
	v_xor_b32_e32 v13, 0x80000000, v11
	v_mov_b32_e32 v12, v10
	s_wait_xcnt 0x0
                                        ; implicit-def: $vgpr16_vgpr17
                                        ; implicit-def: $vgpr14_vgpr15
	s_cbranch_execnz .LBB20_110
	s_branch .LBB20_111
.LBB20_107:                             ;   in Loop: Header=BB20_11 Depth=1
                                        ; implicit-def: $vgpr16_vgpr17
                                        ; implicit-def: $vgpr14_vgpr15
.LBB20_108:                             ;   in Loop: Header=BB20_11 Depth=1
	v_div_scale_f64 v[14:15], null, v[10:11], v[10:11], -v[12:13]
	v_div_scale_f64 v[26:27], vcc_lo, -v[12:13], v[10:11], -v[12:13]
	s_delay_alu instid0(VALU_DEP_2) | instskip(SKIP_1) | instid1(TRANS32_DEP_1)
	v_rcp_f64_e32 v[16:17], v[14:15]
	v_nop
	v_fma_f64 v[18:19], -v[14:15], v[16:17], 1.0
	s_delay_alu instid0(VALU_DEP_1) | instskip(NEXT) | instid1(VALU_DEP_1)
	v_fmac_f64_e32 v[16:17], v[16:17], v[18:19]
	v_fma_f64 v[18:19], -v[14:15], v[16:17], 1.0
	s_delay_alu instid0(VALU_DEP_1) | instskip(NEXT) | instid1(VALU_DEP_1)
	v_fmac_f64_e32 v[16:17], v[16:17], v[18:19]
	v_mul_f64_e32 v[18:19], v[26:27], v[16:17]
	s_delay_alu instid0(VALU_DEP_1) | instskip(NEXT) | instid1(VALU_DEP_1)
	v_fma_f64 v[14:15], -v[14:15], v[18:19], v[26:27]
	v_div_fmas_f64 v[14:15], v[14:15], v[16:17], v[18:19]
	s_delay_alu instid0(VALU_DEP_1) | instskip(NEXT) | instid1(VALU_DEP_1)
	v_div_fixup_f64 v[14:15], v[14:15], v[10:11], -v[12:13]
	v_fma_f64 v[16:17], v[14:15], v[14:15], 1.0
	s_delay_alu instid0(VALU_DEP_1) | instskip(SKIP_2) | instid1(SALU_CYCLE_1)
	v_cmp_gt_f64_e32 vcc_lo, 0x10000000, v[16:17]
	s_and_b32 s26, vcc_lo, exec_lo
	s_cselect_b32 s26, 0x100, 0
	v_ldexp_f64 v[16:17], v[16:17], s26
	s_cselect_b32 s26, 0xffffff80, 0
	s_delay_alu instid0(VALU_DEP_1) | instskip(SKIP_1) | instid1(TRANS32_DEP_1)
	v_rsq_f64_e32 v[18:19], v[16:17]
	v_cmp_class_f64_e64 vcc_lo, v[16:17], 0x260
	v_mul_f64_e32 v[26:27], v[16:17], v[18:19]
	v_mul_f64_e32 v[18:19], 0.5, v[18:19]
	s_delay_alu instid0(VALU_DEP_1) | instskip(NEXT) | instid1(VALU_DEP_1)
	v_fma_f64 v[28:29], -v[18:19], v[26:27], 0.5
	v_fmac_f64_e32 v[26:27], v[26:27], v[28:29]
	v_fmac_f64_e32 v[18:19], v[18:19], v[28:29]
	s_delay_alu instid0(VALU_DEP_2) | instskip(NEXT) | instid1(VALU_DEP_1)
	v_fma_f64 v[28:29], -v[26:27], v[26:27], v[16:17]
	v_fmac_f64_e32 v[26:27], v[28:29], v[18:19]
	s_delay_alu instid0(VALU_DEP_1) | instskip(NEXT) | instid1(VALU_DEP_1)
	v_fma_f64 v[28:29], -v[26:27], v[26:27], v[16:17]
	v_fmac_f64_e32 v[26:27], v[28:29], v[18:19]
	s_delay_alu instid0(VALU_DEP_1) | instskip(NEXT) | instid1(VALU_DEP_1)
	v_ldexp_f64 v[18:19], v[26:27], s26
	v_dual_cndmask_b32 v17, v19, v17 :: v_dual_cndmask_b32 v16, v18, v16
	s_delay_alu instid0(VALU_DEP_1) | instskip(NEXT) | instid1(VALU_DEP_1)
	v_div_scale_f64 v[18:19], null, v[16:17], v[16:17], 1.0
	v_rcp_f64_e32 v[26:27], v[18:19]
	v_nop
	s_delay_alu instid0(TRANS32_DEP_1) | instskip(NEXT) | instid1(VALU_DEP_1)
	v_fma_f64 v[28:29], -v[18:19], v[26:27], 1.0
	v_fmac_f64_e32 v[26:27], v[26:27], v[28:29]
	s_delay_alu instid0(VALU_DEP_1) | instskip(NEXT) | instid1(VALU_DEP_1)
	v_fma_f64 v[28:29], -v[18:19], v[26:27], 1.0
	v_fmac_f64_e32 v[26:27], v[26:27], v[28:29]
	v_div_scale_f64 v[28:29], vcc_lo, 1.0, v[16:17], 1.0
	s_delay_alu instid0(VALU_DEP_1) | instskip(NEXT) | instid1(VALU_DEP_1)
	v_mul_f64_e32 v[30:31], v[28:29], v[26:27]
	v_fma_f64 v[18:19], -v[18:19], v[30:31], v[28:29]
	s_delay_alu instid0(VALU_DEP_1) | instskip(NEXT) | instid1(VALU_DEP_1)
	v_div_fmas_f64 v[18:19], v[18:19], v[26:27], v[30:31]
	v_div_fixup_f64 v[16:17], v[18:19], v[16:17], 1.0
	s_delay_alu instid0(VALU_DEP_1)
	v_mul_f64_e32 v[14:15], v[14:15], v[16:17]
.LBB20_109:                             ;   in Loop: Header=BB20_11 Depth=1
	s_delay_alu instid0(VALU_DEP_1) | instskip(NEXT) | instid1(VALU_DEP_1)
	v_mul_f64_e32 v[18:19], v[10:11], v[16:17]
	v_fma_f64 v[12:13], v[12:13], v[14:15], -v[18:19]
	s_branch .LBB20_111
.LBB20_110:                             ;   in Loop: Header=BB20_11 Depth=1
	v_mov_b64_e32 v[14:15], 0
	v_mov_b64_e32 v[16:17], 1.0
.LBB20_111:                             ;   in Loop: Header=BB20_11 Depth=1
	s_clause 0x2
	global_store_b64 v3, v[12:13], s[92:93]
	global_load_b64 v[18:19], v3, s[90:91] offset:-8
	global_load_b64 v[12:13], v3, s[82:83] offset:-8
	s_cmp_eq_u32 s74, 2
	s_wait_loadcnt 0x1
	v_mul_f64_e32 v[26:27], v[14:15], v[18:19]
	s_wait_loadcnt 0x0
	s_delay_alu instid0(VALU_DEP_1)
	v_fmac_f64_e32 v[26:27], v[16:17], v[12:13]
	global_store_b64 v3, v[26:27], s[90:91] offset:-8
	s_cbranch_scc0 .LBB20_169
; %bb.112:                              ;   in Loop: Header=BB20_11 Depth=1
	s_and_b32 s23, s28, s23
	s_delay_alu instid0(SALU_CYCLE_1)
	v_cndmask_b32_e64 v21, 0, 1, s23
	s_and_not1_b32 vcc_lo, exec_lo, s23
	s_cbranch_vccz .LBB20_170
.LBB20_113:                             ;   in Loop: Header=BB20_11 Depth=1
	s_xor_b32 s23, s59, -1
	s_delay_alu instid0(SALU_CYCLE_1) | instskip(NEXT) | instid1(SALU_CYCLE_1)
	s_or_b32 s23, s104, s23
	s_and_b32 vcc_lo, exec_lo, s23
	s_cbranch_vccnz .LBB20_115
.LBB20_114:                             ;   in Loop: Header=BB20_11 Depth=1
	s_ashr_i32 s69, s68, 31
	s_wait_xcnt 0x0
	v_mov_b32_e32 v25, s74
	s_add_nc_u64 s[26:27], s[80:81], s[68:69]
	s_delay_alu instid0(SALU_CYCLE_1) | instskip(NEXT) | instid1(SALU_CYCLE_1)
	s_lshl_b64 s[26:27], s[26:27], 3
	s_add_nc_u64 s[26:27], s[86:87], s[26:27]
	s_clause 0x1
	global_store_b64 v3, v[14:15], s[26:27] offset:24
	global_store_b64 v25, v[16:17], s[26:27] offset:24 scale_offset
.LBB20_115:                             ;   in Loop: Header=BB20_11 Depth=1
	s_wait_xcnt 0x0
	v_mul_f64_e32 v[16:17], v[16:17], v[18:19]
	s_cmp_eq_u32 s56, 1
	s_mov_b32 s69, 0
	s_delay_alu instid0(VALU_DEP_1)
	v_fma_f64 v[12:13], v[14:15], v[12:13], -v[16:17]
	s_cbranch_scc1 .LBB20_148
; %bb.116:                              ;   in Loop: Header=BB20_11 Depth=1
	s_ashr_i32 s69, s68, 31
	s_sub_co_i32 s26, s76, s72
	s_add_nc_u64 s[44:45], s[84:85], s[68:69]
	s_ashr_i32 s27, s26, 31
	s_xor_b32 s50, s22, -1
	s_add_nc_u64 s[44:45], s[44:45], s[26:27]
	s_xor_b32 s51, s23, -1
	s_lshl_b64 s[22:23], s[44:45], 3
	s_ashr_i32 s75, s74, 31
	s_lshl_b64 s[84:85], s[64:65], 4
	s_add_nc_u64 s[44:45], s[22:23], s[78:79]
	s_lshl_b64 s[80:81], s[74:75], 3
	s_add_nc_u64 s[78:79], s[84:85], s[78:79]
	;; [unrolled: 2-line block ×3, first 2 shown]
	s_add_nc_u64 s[82:83], s[78:79], s[88:89]
	s_add_nc_u64 s[78:79], s[46:47], s[44:45]
	v_readlane_b32 s44, v34, 2
	v_readlane_b32 s45, v34, 3
	s_ashr_i32 s73, s72, 31
	s_add_nc_u64 s[90:91], s[84:85], s[62:63]
	s_add_co_i32 s86, s76, s7
	s_add_nc_u64 s[74:75], s[46:47], s[22:23]
	s_add_nc_u64 s[44:45], s[44:45], s[60:61]
	s_lshl_b32 s23, s64, 1
	s_add_nc_u64 s[26:27], s[44:45], s[26:27]
	s_mul_u64 s[44:45], s[64:65], 24
	s_lshl_b64 s[26:27], s[26:27], 3
	s_add_co_i32 s76, s23, -2
	s_add_nc_u64 s[26:27], s[44:45], s[26:27]
	s_lshl_b64 s[44:45], s[72:73], 3
	v_readlane_b32 s72, v34, 4
	v_readlane_b32 s73, v34, 5
	s_sub_nc_u64 s[26:27], s[26:27], s[44:45]
	s_add_nc_u64 s[44:45], s[90:91], s[88:89]
	s_ashr_i32 s87, s86, 31
	s_ashr_i32 s77, s76, 31
	s_add_nc_u64 s[72:73], s[72:73], s[26:27]
	v_readlane_b32 s26, v34, 6
	v_readlane_b32 s27, v34, 7
	s_lshl_b64 s[76:77], s[76:77], 3
	s_add_nc_u64 s[80:81], s[82:83], s[80:81]
	s_add_co_i32 s69, s56, -1
	s_mov_b32 s22, 1
	s_add_nc_u64 s[84:85], s[26:27], s[44:45]
	s_add_nc_u64 s[26:27], s[62:63], s[88:89]
	v_readlane_b32 s88, v34, 8
	v_readlane_b32 s89, v34, 9
	s_lshl_b64 s[44:45], s[86:87], 3
	s_add_nc_u64 s[86:87], s[24:25], s[26:27]
	s_add_nc_u64 s[26:27], s[90:91], s[44:45]
	;; [unrolled: 1-line block ×3, first 2 shown]
	s_or_b64 s[76:77], s[76:77], 8
	s_add_nc_u64 s[80:81], s[46:47], s[80:81]
	s_add_nc_u64 s[82:83], s[46:47], s[82:83]
	;; [unrolled: 1-line block ×4, first 2 shown]
	s_mov_b64 s[92:93], 0
	s_branch .LBB20_118
.LBB20_117:                             ;   in Loop: Header=BB20_118 Depth=2
	s_wait_xcnt 0x0
	v_mul_f64_e32 v[16:17], v[16:17], v[18:19]
	s_add_co_i32 s22, s22, 1
	s_add_nc_u64 s[92:93], s[92:93], s[76:77]
	s_cmp_eq_u32 s56, s22
	s_delay_alu instid0(VALU_DEP_1)
	v_fma_f64 v[12:13], v[14:15], v[12:13], -v[16:17]
	s_cbranch_scc1 .LBB20_148
.LBB20_118:                             ;   Parent Loop BB20_11 Depth=1
                                        ; =>  This Inner Loop Header: Depth=2
	v_cmp_eq_f64_e32 vcc_lo, 0, v[10:11]
	s_cbranch_vccnz .LBB20_122
; %bb.119:                              ;   in Loop: Header=BB20_118 Depth=2
	s_delay_alu instid0(VALU_DEP_2)
	v_cmp_neq_f64_e32 vcc_lo, 0, v[12:13]
	s_cbranch_vccz .LBB20_123
; %bb.120:                              ;   in Loop: Header=BB20_118 Depth=2
	v_cmp_ngt_f64_e64 s23, |v[10:11]|, |v[12:13]|
	s_and_b32 vcc_lo, exec_lo, s23
	s_cbranch_vccz .LBB20_124
; %bb.121:                              ;   in Loop: Header=BB20_118 Depth=2
	v_div_scale_f64 v[14:15], null, v[12:13], v[12:13], -v[10:11]
	v_div_scale_f64 v[26:27], vcc_lo, -v[10:11], v[12:13], -v[10:11]
	s_delay_alu instid0(VALU_DEP_2) | instskip(SKIP_1) | instid1(TRANS32_DEP_1)
	v_rcp_f64_e32 v[16:17], v[14:15]
	v_nop
	v_fma_f64 v[18:19], -v[14:15], v[16:17], 1.0
	s_delay_alu instid0(VALU_DEP_1) | instskip(NEXT) | instid1(VALU_DEP_1)
	v_fmac_f64_e32 v[16:17], v[16:17], v[18:19]
	v_fma_f64 v[18:19], -v[14:15], v[16:17], 1.0
	s_delay_alu instid0(VALU_DEP_1) | instskip(NEXT) | instid1(VALU_DEP_1)
	v_fmac_f64_e32 v[16:17], v[16:17], v[18:19]
	v_mul_f64_e32 v[18:19], v[26:27], v[16:17]
	s_delay_alu instid0(VALU_DEP_1) | instskip(NEXT) | instid1(VALU_DEP_1)
	v_fma_f64 v[14:15], -v[14:15], v[18:19], v[26:27]
	v_div_fmas_f64 v[14:15], v[14:15], v[16:17], v[18:19]
	s_delay_alu instid0(VALU_DEP_1) | instskip(NEXT) | instid1(VALU_DEP_1)
	v_div_fixup_f64 v[16:17], v[14:15], v[12:13], -v[10:11]
	v_fma_f64 v[14:15], v[16:17], v[16:17], 1.0
	s_delay_alu instid0(VALU_DEP_1) | instskip(SKIP_2) | instid1(SALU_CYCLE_1)
	v_cmp_gt_f64_e32 vcc_lo, 0x10000000, v[14:15]
	s_and_b32 s23, vcc_lo, exec_lo
	s_cselect_b32 s23, 0x100, 0
	v_ldexp_f64 v[14:15], v[14:15], s23
	s_cselect_b32 s23, 0xffffff80, 0
	s_delay_alu instid0(VALU_DEP_1) | instskip(SKIP_1) | instid1(TRANS32_DEP_1)
	v_rsq_f64_e32 v[18:19], v[14:15]
	v_cmp_class_f64_e64 vcc_lo, v[14:15], 0x260
	v_mul_f64_e32 v[26:27], v[14:15], v[18:19]
	v_mul_f64_e32 v[18:19], 0.5, v[18:19]
	s_delay_alu instid0(VALU_DEP_1) | instskip(NEXT) | instid1(VALU_DEP_1)
	v_fma_f64 v[28:29], -v[18:19], v[26:27], 0.5
	v_fmac_f64_e32 v[26:27], v[26:27], v[28:29]
	v_fmac_f64_e32 v[18:19], v[18:19], v[28:29]
	s_delay_alu instid0(VALU_DEP_2) | instskip(NEXT) | instid1(VALU_DEP_1)
	v_fma_f64 v[28:29], -v[26:27], v[26:27], v[14:15]
	v_fmac_f64_e32 v[26:27], v[28:29], v[18:19]
	s_delay_alu instid0(VALU_DEP_1) | instskip(NEXT) | instid1(VALU_DEP_1)
	v_fma_f64 v[28:29], -v[26:27], v[26:27], v[14:15]
	v_fmac_f64_e32 v[26:27], v[28:29], v[18:19]
	s_delay_alu instid0(VALU_DEP_1) | instskip(NEXT) | instid1(VALU_DEP_1)
	v_ldexp_f64 v[18:19], v[26:27], s23
	v_dual_cndmask_b32 v15, v19, v15 :: v_dual_cndmask_b32 v14, v18, v14
	s_delay_alu instid0(VALU_DEP_1) | instskip(NEXT) | instid1(VALU_DEP_1)
	v_div_scale_f64 v[18:19], null, v[14:15], v[14:15], 1.0
	v_rcp_f64_e32 v[26:27], v[18:19]
	v_nop
	s_delay_alu instid0(TRANS32_DEP_1) | instskip(NEXT) | instid1(VALU_DEP_1)
	v_fma_f64 v[28:29], -v[18:19], v[26:27], 1.0
	v_fmac_f64_e32 v[26:27], v[26:27], v[28:29]
	s_delay_alu instid0(VALU_DEP_1) | instskip(NEXT) | instid1(VALU_DEP_1)
	v_fma_f64 v[28:29], -v[18:19], v[26:27], 1.0
	v_fmac_f64_e32 v[26:27], v[26:27], v[28:29]
	v_div_scale_f64 v[28:29], vcc_lo, 1.0, v[14:15], 1.0
	s_delay_alu instid0(VALU_DEP_1) | instskip(NEXT) | instid1(VALU_DEP_1)
	v_mul_f64_e32 v[30:31], v[28:29], v[26:27]
	v_fma_f64 v[18:19], -v[18:19], v[30:31], v[28:29]
	s_delay_alu instid0(VALU_DEP_1) | instskip(NEXT) | instid1(VALU_DEP_1)
	v_div_fmas_f64 v[18:19], v[18:19], v[26:27], v[30:31]
	v_div_fixup_f64 v[14:15], v[18:19], v[14:15], 1.0
	s_delay_alu instid0(VALU_DEP_1)
	v_mul_f64_e32 v[16:17], v[16:17], v[14:15]
	s_cbranch_execz .LBB20_125
	s_branch .LBB20_126
.LBB20_122:                             ;   in Loop: Header=BB20_118 Depth=2
	v_mov_b64_e32 v[14:15], 1.0
	v_mov_b64_e32 v[16:17], 0
	s_branch .LBB20_128
.LBB20_123:                             ;   in Loop: Header=BB20_118 Depth=2
	v_xor_b32_e32 v11, 0x80000000, v11
                                        ; implicit-def: $vgpr16_vgpr17
                                        ; implicit-def: $vgpr14_vgpr15
	s_delay_alu instid0(VALU_DEP_1)
	v_mov_b64_e32 v[12:13], v[10:11]
	s_cbranch_execnz .LBB20_127
	s_branch .LBB20_128
.LBB20_124:                             ;   in Loop: Header=BB20_118 Depth=2
                                        ; implicit-def: $vgpr16_vgpr17
                                        ; implicit-def: $vgpr14_vgpr15
.LBB20_125:                             ;   in Loop: Header=BB20_118 Depth=2
	v_div_scale_f64 v[14:15], null, v[10:11], v[10:11], -v[12:13]
	v_div_scale_f64 v[26:27], vcc_lo, -v[12:13], v[10:11], -v[12:13]
	s_delay_alu instid0(VALU_DEP_2) | instskip(SKIP_1) | instid1(TRANS32_DEP_1)
	v_rcp_f64_e32 v[16:17], v[14:15]
	v_nop
	v_fma_f64 v[18:19], -v[14:15], v[16:17], 1.0
	s_delay_alu instid0(VALU_DEP_1) | instskip(NEXT) | instid1(VALU_DEP_1)
	v_fmac_f64_e32 v[16:17], v[16:17], v[18:19]
	v_fma_f64 v[18:19], -v[14:15], v[16:17], 1.0
	s_delay_alu instid0(VALU_DEP_1) | instskip(NEXT) | instid1(VALU_DEP_1)
	v_fmac_f64_e32 v[16:17], v[16:17], v[18:19]
	v_mul_f64_e32 v[18:19], v[26:27], v[16:17]
	s_delay_alu instid0(VALU_DEP_1) | instskip(NEXT) | instid1(VALU_DEP_1)
	v_fma_f64 v[14:15], -v[14:15], v[18:19], v[26:27]
	v_div_fmas_f64 v[14:15], v[14:15], v[16:17], v[18:19]
	s_delay_alu instid0(VALU_DEP_1) | instskip(NEXT) | instid1(VALU_DEP_1)
	v_div_fixup_f64 v[14:15], v[14:15], v[10:11], -v[12:13]
	v_fma_f64 v[16:17], v[14:15], v[14:15], 1.0
	s_delay_alu instid0(VALU_DEP_1) | instskip(SKIP_2) | instid1(SALU_CYCLE_1)
	v_cmp_gt_f64_e32 vcc_lo, 0x10000000, v[16:17]
	s_and_b32 s23, vcc_lo, exec_lo
	s_cselect_b32 s23, 0x100, 0
	v_ldexp_f64 v[16:17], v[16:17], s23
	s_cselect_b32 s23, 0xffffff80, 0
	s_delay_alu instid0(VALU_DEP_1) | instskip(SKIP_1) | instid1(TRANS32_DEP_1)
	v_rsq_f64_e32 v[18:19], v[16:17]
	v_cmp_class_f64_e64 vcc_lo, v[16:17], 0x260
	v_mul_f64_e32 v[26:27], v[16:17], v[18:19]
	v_mul_f64_e32 v[18:19], 0.5, v[18:19]
	s_delay_alu instid0(VALU_DEP_1) | instskip(NEXT) | instid1(VALU_DEP_1)
	v_fma_f64 v[28:29], -v[18:19], v[26:27], 0.5
	v_fmac_f64_e32 v[26:27], v[26:27], v[28:29]
	v_fmac_f64_e32 v[18:19], v[18:19], v[28:29]
	s_delay_alu instid0(VALU_DEP_2) | instskip(NEXT) | instid1(VALU_DEP_1)
	v_fma_f64 v[28:29], -v[26:27], v[26:27], v[16:17]
	v_fmac_f64_e32 v[26:27], v[28:29], v[18:19]
	s_delay_alu instid0(VALU_DEP_1) | instskip(NEXT) | instid1(VALU_DEP_1)
	v_fma_f64 v[28:29], -v[26:27], v[26:27], v[16:17]
	v_fmac_f64_e32 v[26:27], v[28:29], v[18:19]
	s_delay_alu instid0(VALU_DEP_1) | instskip(NEXT) | instid1(VALU_DEP_1)
	v_ldexp_f64 v[18:19], v[26:27], s23
	v_dual_cndmask_b32 v17, v19, v17 :: v_dual_cndmask_b32 v16, v18, v16
	s_delay_alu instid0(VALU_DEP_1) | instskip(NEXT) | instid1(VALU_DEP_1)
	v_div_scale_f64 v[18:19], null, v[16:17], v[16:17], 1.0
	v_rcp_f64_e32 v[26:27], v[18:19]
	v_nop
	s_delay_alu instid0(TRANS32_DEP_1) | instskip(NEXT) | instid1(VALU_DEP_1)
	v_fma_f64 v[28:29], -v[18:19], v[26:27], 1.0
	v_fmac_f64_e32 v[26:27], v[26:27], v[28:29]
	s_delay_alu instid0(VALU_DEP_1) | instskip(NEXT) | instid1(VALU_DEP_1)
	v_fma_f64 v[28:29], -v[18:19], v[26:27], 1.0
	v_fmac_f64_e32 v[26:27], v[26:27], v[28:29]
	v_div_scale_f64 v[28:29], vcc_lo, 1.0, v[16:17], 1.0
	s_delay_alu instid0(VALU_DEP_1) | instskip(NEXT) | instid1(VALU_DEP_1)
	v_mul_f64_e32 v[30:31], v[28:29], v[26:27]
	v_fma_f64 v[18:19], -v[18:19], v[30:31], v[28:29]
	s_delay_alu instid0(VALU_DEP_1) | instskip(NEXT) | instid1(VALU_DEP_1)
	v_div_fmas_f64 v[18:19], v[18:19], v[26:27], v[30:31]
	v_div_fixup_f64 v[16:17], v[18:19], v[16:17], 1.0
	s_delay_alu instid0(VALU_DEP_1)
	v_mul_f64_e32 v[14:15], v[14:15], v[16:17]
.LBB20_126:                             ;   in Loop: Header=BB20_118 Depth=2
	s_delay_alu instid0(VALU_DEP_1) | instskip(NEXT) | instid1(VALU_DEP_1)
	v_mul_f64_e32 v[10:11], v[10:11], v[16:17]
	v_fma_f64 v[12:13], v[12:13], v[14:15], -v[10:11]
	s_branch .LBB20_128
.LBB20_127:                             ;   in Loop: Header=BB20_118 Depth=2
	v_mov_b64_e32 v[14:15], 0
	v_mov_b64_e32 v[16:17], 1.0
.LBB20_128:                             ;   in Loop: Header=BB20_118 Depth=2
	s_add_nc_u64 s[26:27], s[86:87], s[92:93]
	s_add_nc_u64 s[102:103], s[84:85], s[92:93]
	s_clause 0x1
	global_store_b64 v3, v[12:13], s[26:27]
	global_load_b64 v[18:19], v3, s[102:103]
	s_wait_xcnt 0x1
	s_add_nc_u64 s[26:27], s[90:91], s[92:93]
	s_add_nc_u64 s[44:45], s[88:89], s[92:93]
	global_load_b64 v[12:13], v3, s[26:27]
	v_cmp_ne_u32_e32 vcc_lo, 1, v20
	s_add_nc_u64 s[94:95], s[82:83], s[92:93]
	s_add_nc_u64 s[96:97], s[80:81], s[92:93]
	s_and_b32 vcc_lo, exec_lo, vcc_lo
	s_wait_loadcnt 0x1
	v_mul_f64_e32 v[10:11], v[14:15], v[18:19]
	s_wait_loadcnt 0x0
	s_delay_alu instid0(VALU_DEP_1)
	v_fmac_f64_e32 v[10:11], v[16:17], v[12:13]
	s_clause 0x1
	global_store_b64 v3, v[10:11], s[102:103]
	global_load_b64 v[10:11], v3, s[44:45]
	s_wait_loadcnt 0x0
	v_mul_f64_e32 v[26:27], v[14:15], v[10:11]
	global_store_b64 v3, v[26:27], s[44:45]
	s_cbranch_vccnz .LBB20_130
; %bb.129:                              ;   in Loop: Header=BB20_118 Depth=2
	s_clause 0x1
	global_store_b64 v3, v[14:15], s[94:95]
	global_store_b64 v3, v[16:17], s[96:97]
.LBB20_130:                             ;   in Loop: Header=BB20_118 Depth=2
	s_and_not1_b32 vcc_lo, exec_lo, s50
	s_add_nc_u64 s[98:99], s[78:79], s[92:93]
	s_add_nc_u64 s[100:101], s[74:75], s[92:93]
	s_cbranch_vccnz .LBB20_132
; %bb.131:                              ;   in Loop: Header=BB20_118 Depth=2
	s_clause 0x1
	global_store_b64 v3, v[14:15], s[98:99]
	global_store_b64 v3, v[16:17], s[100:101]
.LBB20_132:                             ;   in Loop: Header=BB20_118 Depth=2
	v_mul_f64_e64 v[10:11], v[10:11], -v[16:17]
	s_wait_xcnt 0x0
	v_mul_f64_e32 v[16:17], v[16:17], v[18:19]
	s_delay_alu instid0(VALU_DEP_2) | instskip(NEXT) | instid1(VALU_DEP_2)
	v_cmp_eq_f64_e32 vcc_lo, 0, v[10:11]
	v_fma_f64 v[12:13], v[14:15], v[12:13], -v[16:17]
	s_cbranch_vccnz .LBB20_136
; %bb.133:                              ;   in Loop: Header=BB20_118 Depth=2
	s_delay_alu instid0(VALU_DEP_1)
	v_cmp_neq_f64_e32 vcc_lo, 0, v[12:13]
	s_cbranch_vccz .LBB20_137
; %bb.134:                              ;   in Loop: Header=BB20_118 Depth=2
	v_cmp_ngt_f64_e64 s23, |v[10:11]|, |v[12:13]|
	s_and_b32 vcc_lo, exec_lo, s23
	s_cbranch_vccz .LBB20_138
; %bb.135:                              ;   in Loop: Header=BB20_118 Depth=2
	v_div_scale_f64 v[14:15], null, v[12:13], v[12:13], -v[10:11]
	v_div_scale_f64 v[26:27], vcc_lo, -v[10:11], v[12:13], -v[10:11]
	s_delay_alu instid0(VALU_DEP_2) | instskip(SKIP_1) | instid1(TRANS32_DEP_1)
	v_rcp_f64_e32 v[16:17], v[14:15]
	v_nop
	v_fma_f64 v[18:19], -v[14:15], v[16:17], 1.0
	s_delay_alu instid0(VALU_DEP_1) | instskip(NEXT) | instid1(VALU_DEP_1)
	v_fmac_f64_e32 v[16:17], v[16:17], v[18:19]
	v_fma_f64 v[18:19], -v[14:15], v[16:17], 1.0
	s_delay_alu instid0(VALU_DEP_1) | instskip(NEXT) | instid1(VALU_DEP_1)
	v_fmac_f64_e32 v[16:17], v[16:17], v[18:19]
	v_mul_f64_e32 v[18:19], v[26:27], v[16:17]
	s_delay_alu instid0(VALU_DEP_1) | instskip(NEXT) | instid1(VALU_DEP_1)
	v_fma_f64 v[14:15], -v[14:15], v[18:19], v[26:27]
	v_div_fmas_f64 v[14:15], v[14:15], v[16:17], v[18:19]
	s_delay_alu instid0(VALU_DEP_1) | instskip(NEXT) | instid1(VALU_DEP_1)
	v_div_fixup_f64 v[16:17], v[14:15], v[12:13], -v[10:11]
	v_fma_f64 v[14:15], v[16:17], v[16:17], 1.0
	s_delay_alu instid0(VALU_DEP_1) | instskip(SKIP_2) | instid1(SALU_CYCLE_1)
	v_cmp_gt_f64_e32 vcc_lo, 0x10000000, v[14:15]
	s_and_b32 s23, vcc_lo, exec_lo
	s_cselect_b32 s23, 0x100, 0
	v_ldexp_f64 v[14:15], v[14:15], s23
	s_cselect_b32 s23, 0xffffff80, 0
	s_delay_alu instid0(VALU_DEP_1) | instskip(SKIP_1) | instid1(TRANS32_DEP_1)
	v_rsq_f64_e32 v[18:19], v[14:15]
	v_cmp_class_f64_e64 vcc_lo, v[14:15], 0x260
	v_mul_f64_e32 v[26:27], v[14:15], v[18:19]
	v_mul_f64_e32 v[18:19], 0.5, v[18:19]
	s_delay_alu instid0(VALU_DEP_1) | instskip(NEXT) | instid1(VALU_DEP_1)
	v_fma_f64 v[28:29], -v[18:19], v[26:27], 0.5
	v_fmac_f64_e32 v[26:27], v[26:27], v[28:29]
	v_fmac_f64_e32 v[18:19], v[18:19], v[28:29]
	s_delay_alu instid0(VALU_DEP_2) | instskip(NEXT) | instid1(VALU_DEP_1)
	v_fma_f64 v[28:29], -v[26:27], v[26:27], v[14:15]
	v_fmac_f64_e32 v[26:27], v[28:29], v[18:19]
	s_delay_alu instid0(VALU_DEP_1) | instskip(NEXT) | instid1(VALU_DEP_1)
	v_fma_f64 v[28:29], -v[26:27], v[26:27], v[14:15]
	v_fmac_f64_e32 v[26:27], v[28:29], v[18:19]
	s_delay_alu instid0(VALU_DEP_1) | instskip(NEXT) | instid1(VALU_DEP_1)
	v_ldexp_f64 v[18:19], v[26:27], s23
	v_dual_cndmask_b32 v15, v19, v15 :: v_dual_cndmask_b32 v14, v18, v14
	s_delay_alu instid0(VALU_DEP_1) | instskip(NEXT) | instid1(VALU_DEP_1)
	v_div_scale_f64 v[18:19], null, v[14:15], v[14:15], 1.0
	v_rcp_f64_e32 v[26:27], v[18:19]
	v_nop
	s_delay_alu instid0(TRANS32_DEP_1) | instskip(NEXT) | instid1(VALU_DEP_1)
	v_fma_f64 v[28:29], -v[18:19], v[26:27], 1.0
	v_fmac_f64_e32 v[26:27], v[26:27], v[28:29]
	s_delay_alu instid0(VALU_DEP_1) | instskip(NEXT) | instid1(VALU_DEP_1)
	v_fma_f64 v[28:29], -v[18:19], v[26:27], 1.0
	v_fmac_f64_e32 v[26:27], v[26:27], v[28:29]
	v_div_scale_f64 v[28:29], vcc_lo, 1.0, v[14:15], 1.0
	s_delay_alu instid0(VALU_DEP_1) | instskip(NEXT) | instid1(VALU_DEP_1)
	v_mul_f64_e32 v[30:31], v[28:29], v[26:27]
	v_fma_f64 v[18:19], -v[18:19], v[30:31], v[28:29]
	s_delay_alu instid0(VALU_DEP_1) | instskip(NEXT) | instid1(VALU_DEP_1)
	v_div_fmas_f64 v[18:19], v[18:19], v[26:27], v[30:31]
	v_div_fixup_f64 v[14:15], v[18:19], v[14:15], 1.0
	s_delay_alu instid0(VALU_DEP_1)
	v_mul_f64_e32 v[16:17], v[16:17], v[14:15]
	s_cbranch_execz .LBB20_139
	s_branch .LBB20_140
.LBB20_136:                             ;   in Loop: Header=BB20_118 Depth=2
	v_mov_b64_e32 v[14:15], 1.0
	v_mov_b64_e32 v[16:17], 0
	s_branch .LBB20_142
.LBB20_137:                             ;   in Loop: Header=BB20_118 Depth=2
	v_xor_b32_e32 v13, 0x80000000, v11
	v_mov_b32_e32 v12, v10
                                        ; implicit-def: $vgpr16_vgpr17
                                        ; implicit-def: $vgpr14_vgpr15
	s_cbranch_execnz .LBB20_141
	s_branch .LBB20_142
.LBB20_138:                             ;   in Loop: Header=BB20_118 Depth=2
                                        ; implicit-def: $vgpr16_vgpr17
                                        ; implicit-def: $vgpr14_vgpr15
.LBB20_139:                             ;   in Loop: Header=BB20_118 Depth=2
	v_div_scale_f64 v[14:15], null, v[10:11], v[10:11], -v[12:13]
	v_div_scale_f64 v[26:27], vcc_lo, -v[12:13], v[10:11], -v[12:13]
	s_delay_alu instid0(VALU_DEP_2) | instskip(SKIP_1) | instid1(TRANS32_DEP_1)
	v_rcp_f64_e32 v[16:17], v[14:15]
	v_nop
	v_fma_f64 v[18:19], -v[14:15], v[16:17], 1.0
	s_delay_alu instid0(VALU_DEP_1) | instskip(NEXT) | instid1(VALU_DEP_1)
	v_fmac_f64_e32 v[16:17], v[16:17], v[18:19]
	v_fma_f64 v[18:19], -v[14:15], v[16:17], 1.0
	s_delay_alu instid0(VALU_DEP_1) | instskip(NEXT) | instid1(VALU_DEP_1)
	v_fmac_f64_e32 v[16:17], v[16:17], v[18:19]
	v_mul_f64_e32 v[18:19], v[26:27], v[16:17]
	s_delay_alu instid0(VALU_DEP_1) | instskip(NEXT) | instid1(VALU_DEP_1)
	v_fma_f64 v[14:15], -v[14:15], v[18:19], v[26:27]
	v_div_fmas_f64 v[14:15], v[14:15], v[16:17], v[18:19]
	s_delay_alu instid0(VALU_DEP_1) | instskip(NEXT) | instid1(VALU_DEP_1)
	v_div_fixup_f64 v[14:15], v[14:15], v[10:11], -v[12:13]
	v_fma_f64 v[16:17], v[14:15], v[14:15], 1.0
	s_delay_alu instid0(VALU_DEP_1) | instskip(SKIP_2) | instid1(SALU_CYCLE_1)
	v_cmp_gt_f64_e32 vcc_lo, 0x10000000, v[16:17]
	s_and_b32 s23, vcc_lo, exec_lo
	s_cselect_b32 s23, 0x100, 0
	v_ldexp_f64 v[16:17], v[16:17], s23
	s_cselect_b32 s23, 0xffffff80, 0
	s_delay_alu instid0(VALU_DEP_1) | instskip(SKIP_1) | instid1(TRANS32_DEP_1)
	v_rsq_f64_e32 v[18:19], v[16:17]
	v_cmp_class_f64_e64 vcc_lo, v[16:17], 0x260
	v_mul_f64_e32 v[26:27], v[16:17], v[18:19]
	v_mul_f64_e32 v[18:19], 0.5, v[18:19]
	s_delay_alu instid0(VALU_DEP_1) | instskip(NEXT) | instid1(VALU_DEP_1)
	v_fma_f64 v[28:29], -v[18:19], v[26:27], 0.5
	v_fmac_f64_e32 v[26:27], v[26:27], v[28:29]
	v_fmac_f64_e32 v[18:19], v[18:19], v[28:29]
	s_delay_alu instid0(VALU_DEP_2) | instskip(NEXT) | instid1(VALU_DEP_1)
	v_fma_f64 v[28:29], -v[26:27], v[26:27], v[16:17]
	v_fmac_f64_e32 v[26:27], v[28:29], v[18:19]
	s_delay_alu instid0(VALU_DEP_1) | instskip(NEXT) | instid1(VALU_DEP_1)
	v_fma_f64 v[28:29], -v[26:27], v[26:27], v[16:17]
	v_fmac_f64_e32 v[26:27], v[28:29], v[18:19]
	s_delay_alu instid0(VALU_DEP_1) | instskip(NEXT) | instid1(VALU_DEP_1)
	v_ldexp_f64 v[18:19], v[26:27], s23
	v_dual_cndmask_b32 v17, v19, v17 :: v_dual_cndmask_b32 v16, v18, v16
	s_delay_alu instid0(VALU_DEP_1) | instskip(NEXT) | instid1(VALU_DEP_1)
	v_div_scale_f64 v[18:19], null, v[16:17], v[16:17], 1.0
	v_rcp_f64_e32 v[26:27], v[18:19]
	v_nop
	s_delay_alu instid0(TRANS32_DEP_1) | instskip(NEXT) | instid1(VALU_DEP_1)
	v_fma_f64 v[28:29], -v[18:19], v[26:27], 1.0
	v_fmac_f64_e32 v[26:27], v[26:27], v[28:29]
	s_delay_alu instid0(VALU_DEP_1) | instskip(NEXT) | instid1(VALU_DEP_1)
	v_fma_f64 v[28:29], -v[18:19], v[26:27], 1.0
	v_fmac_f64_e32 v[26:27], v[26:27], v[28:29]
	v_div_scale_f64 v[28:29], vcc_lo, 1.0, v[16:17], 1.0
	s_delay_alu instid0(VALU_DEP_1) | instskip(NEXT) | instid1(VALU_DEP_1)
	v_mul_f64_e32 v[30:31], v[28:29], v[26:27]
	v_fma_f64 v[18:19], -v[18:19], v[30:31], v[28:29]
	s_delay_alu instid0(VALU_DEP_1) | instskip(NEXT) | instid1(VALU_DEP_1)
	v_div_fmas_f64 v[18:19], v[18:19], v[26:27], v[30:31]
	v_div_fixup_f64 v[16:17], v[18:19], v[16:17], 1.0
	s_delay_alu instid0(VALU_DEP_1)
	v_mul_f64_e32 v[14:15], v[14:15], v[16:17]
.LBB20_140:                             ;   in Loop: Header=BB20_118 Depth=2
	s_delay_alu instid0(VALU_DEP_1) | instskip(NEXT) | instid1(VALU_DEP_1)
	v_mul_f64_e32 v[18:19], v[10:11], v[16:17]
	v_fma_f64 v[12:13], v[12:13], v[14:15], -v[18:19]
	s_branch .LBB20_142
.LBB20_141:                             ;   in Loop: Header=BB20_118 Depth=2
	v_mov_b64_e32 v[14:15], 0
	v_mov_b64_e32 v[16:17], 1.0
.LBB20_142:                             ;   in Loop: Header=BB20_118 Depth=2
	s_clause 0x2
	global_store_b64 v3, v[12:13], s[26:27]
	global_load_b64 v[18:19], v3, s[44:45]
	global_load_b64 v[12:13], v3, s[102:103]
	s_cmp_ge_i32 s22, s69
	s_wait_loadcnt 0x1
	v_mul_f64_e32 v[26:27], v[14:15], v[18:19]
	s_wait_loadcnt 0x0
	s_delay_alu instid0(VALU_DEP_1)
	v_fmac_f64_e32 v[26:27], v[16:17], v[12:13]
	global_store_b64 v3, v[26:27], s[44:45]
	s_cbranch_scc0 .LBB20_145
; %bb.143:                              ;   in Loop: Header=BB20_118 Depth=2
	v_cmp_ne_u32_e32 vcc_lo, 1, v21
	s_cbranch_vccz .LBB20_146
.LBB20_144:                             ;   in Loop: Header=BB20_118 Depth=2
	s_and_not1_b32 vcc_lo, exec_lo, s51
	s_cbranch_vccnz .LBB20_117
	s_branch .LBB20_147
.LBB20_145:                             ;   in Loop: Header=BB20_118 Depth=2
	s_add_nc_u64 s[26:27], s[72:73], s[92:93]
	global_load_b64 v[10:11], v3, s[26:27]
	s_wait_loadcnt 0x0
	s_wait_xcnt 0x1
	v_mul_f64_e32 v[26:27], v[14:15], v[10:11]
	v_mul_f64_e64 v[10:11], v[10:11], -v[16:17]
	global_store_b64 v3, v[26:27], s[26:27]
	v_cmp_ne_u32_e32 vcc_lo, 1, v21
	s_cbranch_vccnz .LBB20_144
.LBB20_146:                             ;   in Loop: Header=BB20_118 Depth=2
	s_clause 0x1
	global_store_b64 v3, v[14:15], s[94:95]
	global_store_b64 v3, v[16:17], s[96:97]
	s_and_not1_b32 vcc_lo, exec_lo, s51
	s_cbranch_vccnz .LBB20_117
.LBB20_147:                             ;   in Loop: Header=BB20_118 Depth=2
	s_clause 0x1
	global_store_b64 v3, v[14:15], s[98:99]
	global_store_b64 v3, v[16:17], s[100:101]
	s_branch .LBB20_117
.LBB20_148:                             ;   in Loop: Header=BB20_11 Depth=1
	s_and_b32 s22, s59, exec_lo
	s_cselect_b32 s22, s69, 0
	s_delay_alu instid0(SALU_CYCLE_1)
	v_mov_b32_e32 v10, s22
	global_store_b64 v10, v[12:13], s[70:71] scale_offset
.LBB20_149:                             ;   in Loop: Header=BB20_11 Depth=1
	s_wait_xcnt 0x0
	s_or_b32 exec_lo, exec_lo, s57
	s_delay_alu instid0(SALU_CYCLE_1)
	s_and_not1_b32 vcc_lo, exec_lo, vcc_hi
	s_wait_storecnt 0x0
	s_barrier_signal -1
	s_barrier_wait -1
	s_cbranch_vccz .LBB20_152
; %bb.150:                              ;   in Loop: Header=BB20_11 Depth=1
	s_and_not1_b32 vcc_lo, exec_lo, s48
	s_cbranch_vccz .LBB20_158
.LBB20_151:                             ;   in Loop: Header=BB20_11 Depth=1
	s_and_not1_b32 vcc_lo, exec_lo, s49
	s_cbranch_vccnz .LBB20_10
	s_branch .LBB20_164
.LBB20_152:                             ;   in Loop: Header=BB20_11 Depth=1
	s_and_saveexec_b32 s22, s0
	s_cbranch_execz .LBB20_157
; %bb.153:                              ;   in Loop: Header=BB20_11 Depth=1
	s_load_b32 s45, s[42:43], 0xc
	s_add_co_i32 s50, s56, -1
	s_cmp_eq_u32 s64, 0
	v_mov_b32_e32 v25, v0
	s_cselect_b32 s50, s50, 0
	s_cselect_b32 s44, s56, 0
	s_ashr_i32 s51, s50, 31
	s_ashr_i32 s59, s58, 31
	s_lshl_b64 s[70:71], s[66:67], 3
	s_lshl_b32 s57, s64, 1
	s_lshl_b64 s[50:51], s[50:51], 3
	s_lshl_b64 s[72:73], s[58:59], 3
	s_add_co_i32 s78, s57, -2
	s_add_nc_u64 s[74:75], s[50:51], s[70:71]
	s_ashr_i32 s65, s64, 31
	s_ashr_i32 s79, s78, 31
	s_add_nc_u64 s[50:51], s[74:75], s[72:73]
	v_dual_add_nc_u32 v10, s44, v22 :: v_dual_mov_b32 v12, v22
	s_lshl_b64 s[72:73], s[78:79], 3
	s_sub_nc_u64 s[70:71], s[50:51], s[62:63]
	s_wait_kmcnt 0x0
	s_and_b32 s50, s45, 0xffff
	s_lshl_b64 s[76:77], s[64:65], 1
	s_ashr_i32 s45, s44, 31
	s_add_nc_u64 s[26:27], s[36:37], s[62:63]
	s_mov_b32 s23, 0
	s_add_nc_u64 s[70:71], s[52:53], s[70:71]
	s_or_b64 s[72:73], s[72:73], 8
	s_add_nc_u64 s[74:75], s[54:55], s[74:75]
	s_add_nc_u64 s[76:77], s[76:77], s[44:45]
	s_mul_i32 s45, s11, s50
	s_or_b64 s[78:79], s[78:79], 1
.LBB20_154:                             ;   Parent Loop BB20_11 Depth=1
                                        ; =>  This Loop Header: Depth=2
                                        ;       Child Loop BB20_155 Depth 3
	v_mad_u32 v11, v25, s11, s44
	v_ashrrev_i32_e32 v13, 31, v12
	s_mov_b64 s[80:81], 0
	s_mov_b32 s51, s56
	global_load_b64 v[14:15], v11, s[26:27] scale_offset
	s_wait_xcnt 0x0
	v_ashrrev_i32_e32 v11, 31, v10
	v_add_nc_u64_e32 v[16:17], s[76:77], v[12:13]
	s_delay_alu instid0(VALU_DEP_2)
	v_lshl_add_u64 v[18:19], v[10:11], 3, s[26:27]
.LBB20_155:                             ;   Parent Loop BB20_11 Depth=1
                                        ;     Parent Loop BB20_154 Depth=2
                                        ; =>    This Inner Loop Header: Depth=3
	s_wait_xcnt 0x1
	s_delay_alu instid0(VALU_DEP_2)
	v_lshl_add_u64 v[20:21], v[16:17], 3, s[26:27]
	s_add_nc_u64 s[82:83], s[74:75], s[80:81]
	s_add_nc_u64 s[84:85], s[70:71], s[80:81]
	s_clause 0x1
	global_load_b64 v[26:27], v3, s[82:83]
	global_load_b64 v[28:29], v3, s[84:85]
	global_load_b64 v[30:31], v[20:21], off offset:-8
	v_add_nc_u64_e32 v[16:17], s[78:79], v[16:17]
	s_add_co_i32 s51, s51, -1
	s_delay_alu instid0(SALU_CYCLE_1) | instskip(SKIP_2) | instid1(VALU_DEP_1)
	s_cmp_eq_u32 s51, 0
	s_wait_loadcnt 0x0
	v_mul_f64_e32 v[32:33], v[30:31], v[28:29]
	v_fma_f64 v[32:33], v[14:15], v[26:27], -v[32:33]
	v_mul_f64_e32 v[14:15], v[14:15], v[28:29]
	s_delay_alu instid0(VALU_DEP_1)
	v_fmac_f64_e32 v[14:15], v[30:31], v[26:27]
	v_add_nc_u64_e32 v[26:27], s[80:81], v[18:19]
	s_add_nc_u64 s[80:81], s[80:81], s[72:73]
	global_store_b64 v[26:27], v[32:33], off
	s_cbranch_scc0 .LBB20_155
; %bb.156:                              ;   in Loop: Header=BB20_154 Depth=2
	v_dual_add_nc_u32 v25, s50, v25 :: v_dual_add_nc_u32 v12, s45, v12
	v_add_nc_u32_e32 v10, s45, v10
	global_store_b64 v[20:21], v[14:15], off offset:-8
	v_cmp_le_i32_e32 vcc_lo, s29, v25
	s_or_b32 s23, vcc_lo, s23
	s_wait_xcnt 0x0
	s_and_not1_b32 exec_lo, exec_lo, s23
	s_cbranch_execnz .LBB20_154
.LBB20_157:                             ;   in Loop: Header=BB20_11 Depth=1
	s_or_b32 exec_lo, exec_lo, s22
	s_delay_alu instid0(SALU_CYCLE_1)
	s_and_not1_b32 vcc_lo, exec_lo, s48
	s_cbranch_vccnz .LBB20_151
.LBB20_158:                             ;   in Loop: Header=BB20_11 Depth=1
	s_and_saveexec_b32 s22, s1
	s_cbranch_execz .LBB20_163
; %bb.159:                              ;   in Loop: Header=BB20_11 Depth=1
	s_mul_i32 s26, s60, s9
	s_load_b32 s51, s[42:43], 0xc
	s_ashr_i32 s27, s26, 31
	s_add_co_i32 s44, s56, -1
	s_lshl_b64 s[26:27], s[26:27], 3
	s_cmp_eq_u32 s64, 0
	s_mov_b32 s23, 0
	s_cselect_b32 s57, s56, 0
	s_cselect_b32 s44, s44, 0
	s_lshl_b32 s65, s64, 1
	s_mul_i32 s50, s57, s9
	s_add_co_i32 s57, s57, s65
	s_add_co_i32 s70, s44, s68
	s_add_co_i32 s57, s57, -1
	s_ashr_i32 s59, s58, 31
	v_mad_u32 v14, s9, s57, v0
	s_ashr_i32 s71, s70, 31
	s_add_co_i32 s72, s65, -2
	s_lshl_b64 s[60:61], s[66:67], 3
	s_lshl_b64 s[44:45], s[58:59], 3
	;; [unrolled: 1-line block ×3, first 2 shown]
	s_ashr_i32 s73, s72, 31
	v_dual_mov_b32 v16, v0 :: v_dual_add_nc_u32 v15, s50, v0
	s_sub_nc_u64 s[44:45], s[44:45], s[62:63]
	s_add_nc_u64 s[60:61], s[60:61], s[70:71]
	s_lshl_b64 s[70:71], s[72:73], 3
	s_add_nc_u64 s[26:27], s[34:35], s[26:27]
	s_add_nc_u64 s[44:45], s[44:45], 40
	s_wait_kmcnt 0x0
	s_and_b32 s51, s51, 0xffff
	s_add_nc_u64 s[60:61], s[18:19], s[60:61]
	s_or_b64 s[70:71], s[70:71], 8
	s_mul_i32 s7, s9, s7
.LBB20_160:                             ;   Parent Loop BB20_11 Depth=1
                                        ; =>  This Loop Header: Depth=2
                                        ;       Child Loop BB20_161 Depth 3
	v_add_nc_u32_e32 v10, s50, v16
	s_mov_b32 s57, 0
	s_mov_b64 s[72:73], s[60:61]
	s_mov_b32 s59, s56
	global_load_b64 v[10:11], v10, s[26:27] scale_offset
.LBB20_161:                             ;   Parent Loop BB20_11 Depth=1
                                        ;     Parent Loop BB20_160 Depth=2
                                        ; =>    This Inner Loop Header: Depth=3
	s_wait_xcnt 0x1
	v_add_nc_u32_e32 v12, s57, v14
	s_add_nc_u64 s[74:75], s[72:73], s[44:45]
	s_add_co_i32 s59, s59, -1
	s_clause 0x1
	global_load_b64 v[18:19], v3, s[72:73] offset:32
	global_load_b64 v[20:21], v3, s[74:75]
	global_load_b64 v[26:27], v12, s[26:27] scale_offset
	s_wait_xcnt 0x2
	s_add_nc_u64 s[72:73], s[72:73], s[70:71]
	v_add_nc_u32_e32 v13, s57, v15
	s_add_co_i32 s57, s57, s7
	s_cmp_eq_u32 s59, 0
	s_wait_loadcnt 0x0
	v_mul_f64_e32 v[28:29], v[26:27], v[20:21]
	s_delay_alu instid0(VALU_DEP_1)
	v_fma_f64 v[28:29], v[10:11], v[18:19], -v[28:29]
	v_mul_f64_e32 v[10:11], v[10:11], v[20:21]
	global_store_b64 v13, v[28:29], s[26:27] scale_offset
	v_fmac_f64_e32 v[10:11], v[26:27], v[18:19]
	s_cbranch_scc0 .LBB20_161
; %bb.162:                              ;   in Loop: Header=BB20_160 Depth=2
	v_dual_add_nc_u32 v16, s51, v16 :: v_dual_add_nc_u32 v15, s51, v15
	s_wait_xcnt 0x0
	v_dual_ashrrev_i32 v13, 31, v12 :: v_dual_add_nc_u32 v14, s51, v14
	s_delay_alu instid0(VALU_DEP_2) | instskip(NEXT) | instid1(VALU_DEP_2)
	v_cmp_le_i32_e32 vcc_lo, s30, v16
	v_lshl_add_u64 v[12:13], v[12:13], 3, s[26:27]
	s_or_b32 s23, vcc_lo, s23
	global_store_b64 v[12:13], v[10:11], off
	s_wait_xcnt 0x0
	s_and_not1_b32 exec_lo, exec_lo, s23
	s_cbranch_execnz .LBB20_160
.LBB20_163:                             ;   in Loop: Header=BB20_11 Depth=1
	s_or_b32 exec_lo, exec_lo, s22
	s_delay_alu instid0(SALU_CYCLE_1)
	s_and_not1_b32 vcc_lo, exec_lo, s49
	s_cbranch_vccnz .LBB20_10
.LBB20_164:                             ;   in Loop: Header=BB20_11 Depth=1
	s_and_saveexec_b32 s7, s6
	s_cbranch_execz .LBB20_9
; %bb.165:                              ;   in Loop: Header=BB20_11 Depth=1
	s_load_b32 s23, s[42:43], 0xc
	s_add_co_i32 s45, s56, -1
	s_cmp_eq_u32 s64, 0
	v_mov_b32_e32 v25, v0
	s_cselect_b32 s45, s45, 0
	s_cselect_b32 s44, s56, 0
	s_add_co_i32 s50, s45, s68
	s_ashr_i32 s59, s58, 31
	s_ashr_i32 s51, s50, 31
	s_lshl_b64 s[60:61], s[66:67], 3
	s_lshl_b32 s45, s64, 1
	s_lshl_b64 s[50:51], s[50:51], 3
	s_lshl_b64 s[58:59], s[58:59], 3
	s_add_nc_u64 s[50:51], s[60:61], s[50:51]
	s_add_co_i32 s66, s45, -2
	s_ashr_i32 s65, s64, 31
	s_add_nc_u64 s[58:59], s[50:51], s[58:59]
	s_ashr_i32 s67, s66, 31
	v_dual_add_nc_u32 v10, s44, v23 :: v_dual_mov_b32 v12, v23
	s_add_nc_u64 s[26:27], s[40:41], s[62:63]
	s_sub_nc_u64 s[58:59], s[58:59], s[62:63]
	s_wait_kmcnt 0x0
	s_and_b32 s23, s23, 0xffff
	s_lshl_b64 s[60:61], s[66:67], 3
	s_add_nc_u64 s[62:63], s[54:55], s[50:51]
	s_lshl_b64 s[50:51], s[64:65], 1
	s_ashr_i32 s45, s44, 31
	s_mov_b32 s22, 0
	s_add_nc_u64 s[58:59], s[52:53], s[58:59]
	s_or_b64 s[60:61], s[60:61], 8
	s_add_nc_u64 s[64:65], s[50:51], s[44:45]
	s_mul_i32 s45, s39, s23
	s_or_b64 s[66:67], s[66:67], 1
.LBB20_166:                             ;   Parent Loop BB20_11 Depth=1
                                        ; =>  This Loop Header: Depth=2
                                        ;       Child Loop BB20_167 Depth 3
	v_mad_u32 v11, v25, s39, s44
	v_ashrrev_i32_e32 v13, 31, v12
	s_mov_b64 s[68:69], 0
	s_mov_b32 s50, s56
	global_load_b64 v[14:15], v11, s[26:27] scale_offset
	s_wait_xcnt 0x0
	v_ashrrev_i32_e32 v11, 31, v10
	v_add_nc_u64_e32 v[16:17], s[64:65], v[12:13]
	s_delay_alu instid0(VALU_DEP_2)
	v_lshl_add_u64 v[18:19], v[10:11], 3, s[26:27]
.LBB20_167:                             ;   Parent Loop BB20_11 Depth=1
                                        ;     Parent Loop BB20_166 Depth=2
                                        ; =>    This Inner Loop Header: Depth=3
	s_wait_xcnt 0x1
	s_delay_alu instid0(VALU_DEP_2)
	v_lshl_add_u64 v[20:21], v[16:17], 3, s[26:27]
	s_add_nc_u64 s[70:71], s[62:63], s[68:69]
	s_add_nc_u64 s[72:73], s[58:59], s[68:69]
	s_clause 0x1
	global_load_b64 v[26:27], v3, s[70:71]
	global_load_b64 v[28:29], v3, s[72:73]
	global_load_b64 v[30:31], v[20:21], off offset:-8
	v_add_nc_u64_e32 v[16:17], s[66:67], v[16:17]
	s_add_co_i32 s50, s50, -1
	s_delay_alu instid0(SALU_CYCLE_1) | instskip(SKIP_2) | instid1(VALU_DEP_1)
	s_cmp_eq_u32 s50, 0
	s_wait_loadcnt 0x0
	v_mul_f64_e32 v[32:33], v[30:31], v[28:29]
	v_fma_f64 v[32:33], v[14:15], v[26:27], -v[32:33]
	v_mul_f64_e32 v[14:15], v[14:15], v[28:29]
	s_delay_alu instid0(VALU_DEP_1)
	v_fmac_f64_e32 v[14:15], v[30:31], v[26:27]
	v_add_nc_u64_e32 v[26:27], s[68:69], v[18:19]
	s_add_nc_u64 s[68:69], s[68:69], s[60:61]
	global_store_b64 v[26:27], v[32:33], off
	s_cbranch_scc0 .LBB20_167
; %bb.168:                              ;   in Loop: Header=BB20_166 Depth=2
	v_dual_add_nc_u32 v25, s23, v25 :: v_dual_add_nc_u32 v12, s45, v12
	v_add_nc_u32_e32 v10, s45, v10
	global_store_b64 v[20:21], v[14:15], off offset:-8
	v_cmp_le_i32_e32 vcc_lo, s31, v25
	s_or_b32 s22, vcc_lo, s22
	s_wait_xcnt 0x0
	s_and_not1_b32 exec_lo, exec_lo, s22
	s_cbranch_execnz .LBB20_166
	s_branch .LBB20_9
.LBB20_169:                             ;   in Loop: Header=BB20_11 Depth=1
	v_mov_b32_e32 v21, s7
	global_load_b64 v[10:11], v21, s[82:83] offset:-8 scale_offset
	s_wait_loadcnt 0x0
	s_wait_xcnt 0x1
	v_mul_f64_e32 v[26:27], v[14:15], v[10:11]
	v_mul_f64_e64 v[10:11], v[10:11], -v[16:17]
	global_store_b64 v21, v[26:27], s[82:83] offset:-8 scale_offset
	s_and_b32 s23, s28, s23
	s_wait_xcnt 0x0
	v_cndmask_b32_e64 v21, 0, 1, s23
	s_and_not1_b32 vcc_lo, exec_lo, s23
	s_cbranch_vccnz .LBB20_113
.LBB20_170:                             ;   in Loop: Header=BB20_11 Depth=1
	v_mov_b32_e32 v25, s74
	s_clause 0x1
	global_store_b64 v3, v[14:15], s[88:89] offset:24
	global_store_b64 v25, v[16:17], s[88:89] offset:24 scale_offset
	s_xor_b32 s23, s59, -1
	s_delay_alu instid0(SALU_CYCLE_1) | instskip(NEXT) | instid1(SALU_CYCLE_1)
	s_or_b32 s23, s104, s23
	s_and_b32 vcc_lo, exec_lo, s23
	s_cbranch_vccz .LBB20_114
	s_branch .LBB20_115
.LBB20_171:
	s_endpgm
	.section	.rodata,"a",@progbits
	.p2align	6, 0x0
	.amdhsa_kernel _ZN9rocsolver6v33100L13bdsqr_computeILi256EddPdS2_S2_EEviiiiPT1_lS4_lT2_iilT3_iilT4_iiliS3_S3_S3_S3_PiS4_ilS8_
		.amdhsa_group_segment_fixed_size 2072
		.amdhsa_private_segment_fixed_size 0
		.amdhsa_kernarg_size 456
		.amdhsa_user_sgpr_count 2
		.amdhsa_user_sgpr_dispatch_ptr 0
		.amdhsa_user_sgpr_queue_ptr 0
		.amdhsa_user_sgpr_kernarg_segment_ptr 1
		.amdhsa_user_sgpr_dispatch_id 0
		.amdhsa_user_sgpr_kernarg_preload_length 0
		.amdhsa_user_sgpr_kernarg_preload_offset 0
		.amdhsa_user_sgpr_private_segment_size 0
		.amdhsa_wavefront_size32 1
		.amdhsa_uses_dynamic_stack 0
		.amdhsa_enable_private_segment 0
		.amdhsa_system_sgpr_workgroup_id_x 1
		.amdhsa_system_sgpr_workgroup_id_y 1
		.amdhsa_system_sgpr_workgroup_id_z 1
		.amdhsa_system_sgpr_workgroup_info 0
		.amdhsa_system_vgpr_workitem_id 0
		.amdhsa_next_free_vgpr 35
		.amdhsa_next_free_sgpr 105
		.amdhsa_named_barrier_count 0
		.amdhsa_reserve_vcc 1
		.amdhsa_float_round_mode_32 0
		.amdhsa_float_round_mode_16_64 0
		.amdhsa_float_denorm_mode_32 3
		.amdhsa_float_denorm_mode_16_64 3
		.amdhsa_fp16_overflow 0
		.amdhsa_memory_ordered 1
		.amdhsa_forward_progress 1
		.amdhsa_inst_pref_size 72
		.amdhsa_round_robin_scheduling 0
		.amdhsa_exception_fp_ieee_invalid_op 0
		.amdhsa_exception_fp_denorm_src 0
		.amdhsa_exception_fp_ieee_div_zero 0
		.amdhsa_exception_fp_ieee_overflow 0
		.amdhsa_exception_fp_ieee_underflow 0
		.amdhsa_exception_fp_ieee_inexact 0
		.amdhsa_exception_int_div_zero 0
	.end_amdhsa_kernel
	.section	.text._ZN9rocsolver6v33100L13bdsqr_computeILi256EddPdS2_S2_EEviiiiPT1_lS4_lT2_iilT3_iilT4_iiliS3_S3_S3_S3_PiS4_ilS8_,"axG",@progbits,_ZN9rocsolver6v33100L13bdsqr_computeILi256EddPdS2_S2_EEviiiiPT1_lS4_lT2_iilT3_iilT4_iiliS3_S3_S3_S3_PiS4_ilS8_,comdat
.Lfunc_end20:
	.size	_ZN9rocsolver6v33100L13bdsqr_computeILi256EddPdS2_S2_EEviiiiPT1_lS4_lT2_iilT3_iilT4_iiliS3_S3_S3_S3_PiS4_ilS8_, .Lfunc_end20-_ZN9rocsolver6v33100L13bdsqr_computeILi256EddPdS2_S2_EEviiiiPT1_lS4_lT2_iilT3_iilT4_iiliS3_S3_S3_S3_PiS4_ilS8_
                                        ; -- End function
	.set _ZN9rocsolver6v33100L13bdsqr_computeILi256EddPdS2_S2_EEviiiiPT1_lS4_lT2_iilT3_iilT4_iiliS3_S3_S3_S3_PiS4_ilS8_.num_vgpr, 35
	.set _ZN9rocsolver6v33100L13bdsqr_computeILi256EddPdS2_S2_EEviiiiPT1_lS4_lT2_iilT3_iilT4_iiliS3_S3_S3_S3_PiS4_ilS8_.num_agpr, 0
	.set _ZN9rocsolver6v33100L13bdsqr_computeILi256EddPdS2_S2_EEviiiiPT1_lS4_lT2_iilT3_iilT4_iiliS3_S3_S3_S3_PiS4_ilS8_.numbered_sgpr, 105
	.set _ZN9rocsolver6v33100L13bdsqr_computeILi256EddPdS2_S2_EEviiiiPT1_lS4_lT2_iilT3_iilT4_iiliS3_S3_S3_S3_PiS4_ilS8_.num_named_barrier, 0
	.set _ZN9rocsolver6v33100L13bdsqr_computeILi256EddPdS2_S2_EEviiiiPT1_lS4_lT2_iilT3_iilT4_iiliS3_S3_S3_S3_PiS4_ilS8_.private_seg_size, 0
	.set _ZN9rocsolver6v33100L13bdsqr_computeILi256EddPdS2_S2_EEviiiiPT1_lS4_lT2_iilT3_iilT4_iiliS3_S3_S3_S3_PiS4_ilS8_.uses_vcc, 1
	.set _ZN9rocsolver6v33100L13bdsqr_computeILi256EddPdS2_S2_EEviiiiPT1_lS4_lT2_iilT3_iilT4_iiliS3_S3_S3_S3_PiS4_ilS8_.uses_flat_scratch, 0
	.set _ZN9rocsolver6v33100L13bdsqr_computeILi256EddPdS2_S2_EEviiiiPT1_lS4_lT2_iilT3_iilT4_iiliS3_S3_S3_S3_PiS4_ilS8_.has_dyn_sized_stack, 0
	.set _ZN9rocsolver6v33100L13bdsqr_computeILi256EddPdS2_S2_EEviiiiPT1_lS4_lT2_iilT3_iilT4_iiliS3_S3_S3_S3_PiS4_ilS8_.has_recursion, 0
	.set _ZN9rocsolver6v33100L13bdsqr_computeILi256EddPdS2_S2_EEviiiiPT1_lS4_lT2_iilT3_iilT4_iiliS3_S3_S3_S3_PiS4_ilS8_.has_indirect_call, 0
	.section	.AMDGPU.csdata,"",@progbits
; Kernel info:
; codeLenInByte = 9140
; TotalNumSgprs: 107
; NumVgprs: 35
; ScratchSize: 0
; MemoryBound: 0
; FloatMode: 240
; IeeeMode: 1
; LDSByteSize: 2072 bytes/workgroup (compile time only)
; SGPRBlocks: 0
; VGPRBlocks: 2
; NumSGPRsForWavesPerEU: 107
; NumVGPRsForWavesPerEU: 35
; NamedBarCnt: 0
; Occupancy: 16
; WaveLimiterHint : 1
; COMPUTE_PGM_RSRC2:SCRATCH_EN: 0
; COMPUTE_PGM_RSRC2:USER_SGPR: 2
; COMPUTE_PGM_RSRC2:TRAP_HANDLER: 0
; COMPUTE_PGM_RSRC2:TGID_X_EN: 1
; COMPUTE_PGM_RSRC2:TGID_Y_EN: 1
; COMPUTE_PGM_RSRC2:TGID_Z_EN: 1
; COMPUTE_PGM_RSRC2:TIDIG_COMP_CNT: 0
	.section	.text._ZN9rocsolver6v33100L12bdsqr_rotateIddPdS2_S2_EEviiiiT1_iilT2_iilT3_iiliPiPT0_ilS6_,"axG",@progbits,_ZN9rocsolver6v33100L12bdsqr_rotateIddPdS2_S2_EEviiiiT1_iilT2_iilT3_iiliPiPT0_ilS6_,comdat
	.globl	_ZN9rocsolver6v33100L12bdsqr_rotateIddPdS2_S2_EEviiiiT1_iilT2_iilT3_iiliPiPT0_ilS6_ ; -- Begin function _ZN9rocsolver6v33100L12bdsqr_rotateIddPdS2_S2_EEviiiiT1_iilT2_iilT3_iiliPiPT0_ilS6_
	.p2align	8
	.type	_ZN9rocsolver6v33100L12bdsqr_rotateIddPdS2_S2_EEviiiiT1_iilT2_iilT3_iiliPiPT0_ilS6_,@function
_ZN9rocsolver6v33100L12bdsqr_rotateIddPdS2_S2_EEviiiiT1_iilT2_iilT3_iiliPiPT0_ilS6_: ; @_ZN9rocsolver6v33100L12bdsqr_rotateIddPdS2_S2_EEviiiiT1_iilT2_iilT3_iiliPiPT0_ilS6_
; %bb.0:
	s_load_b128 s[12:15], s[0:1], 0x78
	s_bfe_u32 s2, ttmp6, 0x40014
	s_lshr_b32 s3, ttmp7, 16
	s_add_co_i32 s2, s2, 1
	s_bfe_u32 s4, ttmp6, 0x40008
	s_mul_i32 s2, s3, s2
	s_getreg_b32 s26, hwreg(HW_REG_IB_STS2, 6, 4)
	s_add_co_i32 s4, s4, s2
	s_cmp_eq_u32 s26, 0
	s_mov_b32 s25, 0
	s_cselect_b32 s24, s3, s4
	s_wait_kmcnt 0x0
	s_load_b32 s2, s[14:15], s24 offset:0x8 scale_offset
	s_wait_kmcnt 0x0
	s_cmp_lg_u32 s2, 0
	s_cbranch_scc1 .LBB21_25
; %bb.1:
	s_load_b256 s[4:11], s[0:1], 0x10
	s_mov_b64 s[20:21], 0
	s_mov_b64 s[22:23], 0
	s_wait_kmcnt 0x0
	s_cmp_eq_u64 s[4:5], 0
	s_cbranch_scc1 .LBB21_3
; %bb.2:
	s_mul_u64 s[2:3], s[8:9], s[24:25]
	s_ashr_i32 s9, s6, 31
	s_lshl_b64 s[2:3], s[2:3], 3
	s_mov_b32 s8, s6
	s_add_nc_u64 s[2:3], s[4:5], s[2:3]
	s_lshl_b64 s[4:5], s[8:9], 3
	s_delay_alu instid0(SALU_CYCLE_1)
	s_add_nc_u64 s[22:23], s[2:3], s[4:5]
.LBB21_3:
	s_clause 0x1
	s_load_b64 s[2:3], s[0:1], 0x30
	s_load_b128 s[16:19], s[0:1], 0x38
	s_cmp_eq_u64 s[10:11], 0
	s_cbranch_scc1 .LBB21_5
; %bb.4:
	s_wait_kmcnt 0x0
	s_mul_u64 s[4:5], s[16:17], s[24:25]
	s_ashr_i32 s9, s2, 31
	s_lshl_b64 s[4:5], s[4:5], 3
	s_mov_b32 s8, s2
	s_add_nc_u64 s[4:5], s[10:11], s[4:5]
	s_lshl_b64 s[8:9], s[8:9], 3
	s_delay_alu instid0(SALU_CYCLE_1)
	s_add_nc_u64 s[20:21], s[4:5], s[8:9]
.LBB21_5:
	s_wait_kmcnt 0x0
	s_load_b64 s[16:17], s[0:1], 0x48
	s_cmp_eq_u64 s[18:19], 0
	s_mov_b64 s[4:5], 0
	s_cbranch_scc1 .LBB21_7
; %bb.6:
	s_load_b64 s[4:5], s[0:1], 0x50
	s_wait_kmcnt 0x0
	s_ashr_i32 s9, s16, 31
	s_mov_b32 s8, s16
	s_delay_alu instid0(SALU_CYCLE_1) | instskip(SKIP_1) | instid1(SALU_CYCLE_1)
	s_lshl_b64 s[8:9], s[8:9], 3
	s_mul_u64 s[4:5], s[4:5], s[24:25]
	s_lshl_b64 s[4:5], s[4:5], 3
	s_delay_alu instid0(SALU_CYCLE_1) | instskip(NEXT) | instid1(SALU_CYCLE_1)
	s_add_nc_u64 s[4:5], s[18:19], s[4:5]
	s_add_nc_u64 s[4:5], s[4:5], s[8:9]
.LBB21_7:
	s_load_b128 s[8:11], s[0:1], 0x60
	s_bfe_u32 s2, ttmp6, 0x40010
	s_and_b32 s6, ttmp7, 0xffff
	s_add_co_i32 s2, s2, 1
	s_bfe_u32 s14, ttmp6, 0x40004
	s_mul_i32 s2, s6, s2
	s_mul_u64 s[12:13], s[12:13], s[24:25]
	s_add_co_i32 s14, s14, s2
	s_cmp_eq_u32 s26, 0
	s_cselect_b32 s30, s6, s14
	s_lshl_b64 s[12:13], s[12:13], 3
	s_wait_kmcnt 0x0
	s_add_nc_u64 s[10:11], s[10:11], s[12:13]
	s_load_b64 s[12:13], s[10:11], 0x10
	s_wait_kmcnt 0x0
	v_cvt_i32_f64_e32 v8, s[12:13]
	s_delay_alu instid0(VALU_DEP_1)
	v_cmp_ge_i32_e32 vcc_lo, s30, v8
	s_cbranch_vccnz .LBB21_25
; %bb.8:
	s_clause 0x3
	s_load_b128 s[12:15], s[0:1], 0x0
	s_load_b32 s2, s[0:1], 0x94
	s_load_b32 s31, s[0:1], 0x58
	;; [unrolled: 1-line block ×3, first 2 shown]
	s_bfe_u32 s6, ttmp6, 0x4000c
	s_and_b32 s16, ttmp6, 15
	s_add_co_i32 s6, s6, 1
	s_wait_xcnt 0x0
	s_add_nc_u64 s[0:1], s[0:1], 0x88
	s_mul_i32 s6, ttmp9, s6
	s_load_b32 s34, s[0:1], 0x4
	s_add_co_i32 s16, s16, s6
	v_mov_b32_e32 v12, 0
	s_wait_kmcnt 0x0
	s_mul_i32 s12, s24, s12
	s_and_b32 s2, 0xffff, s2
	s_lshl_b32 s18, s12, 1
	s_delay_alu instid0(SALU_CYCLE_1) | instskip(NEXT) | instid1(SALU_CYCLE_1)
	s_ashr_i32 s19, s18, 31
	s_lshl_b64 s[18:19], s[18:19], 2
	s_cmp_eq_u32 s26, 0
	s_cselect_b32 s6, ttmp9, s16
	s_cmp_eq_u32 s13, 0
	v_mad_u32 v9, s6, s2, v0
	s_cselect_b32 s35, -1, 0
	s_cmp_lg_u64 s[22:23], 0
	s_cselect_b32 s1, -1, 0
	s_delay_alu instid0(VALU_DEP_1)
	v_cmp_gt_i32_e32 vcc_lo, s13, v9
	v_cmp_gt_i32_e64 s0, s14, v9
	v_mul_lo_u32 v10, v9, s7
	v_mul_lo_u32 v11, v9, s17
	s_add_nc_u64 s[12:13], s[10:11], 40
	s_and_b32 s36, vcc_lo, s1
	s_cmp_lg_u64 s[20:21], 0
	v_cmp_gt_i32_e32 vcc_lo, s15, v9
	s_cselect_b32 s1, -1, 0
	s_add_nc_u64 s[6:7], s[8:9], s[18:19]
	s_and_b32 s37, s0, s1
	s_cmp_lg_u64 s[4:5], 0
	s_add_nc_u64 s[8:9], s[10:11], 32
	s_cselect_b32 s0, -1, 0
	s_delay_alu instid0(SALU_CYCLE_1)
	s_and_b32 s38, vcc_lo, s0
	s_branch .LBB21_12
.LBB21_9:                               ;   in Loop: Header=BB21_12 Depth=1
	v_sub_nc_u64_e64 v[2:3], v[2:3], s[0:1]
	s_delay_alu instid0(VALU_DEP_1) | instskip(NEXT) | instid1(VALU_DEP_1)
	v_add_nc_u64_e32 v[2:3], s[4:5], v[2:3]
	v_add_nc_u64_e32 v[2:3], s[16:17], v[2:3]
	global_store_b64 v[2:3], v[0:1], off
.LBB21_10:                              ;   in Loop: Header=BB21_12 Depth=1
	s_wait_xcnt 0x0
	s_or_b32 exec_lo, exec_lo, s26
.LBB21_11:                              ;   in Loop: Header=BB21_12 Depth=1
	s_add_co_i32 s30, s34, s30
	s_delay_alu instid0(SALU_CYCLE_1)
	v_cmp_lt_i32_e32 vcc_lo, s30, v8
	s_cbranch_vccz .LBB21_25
.LBB21_12:                              ; =>This Loop Header: Depth=1
                                        ;     Child Loop BB21_16 Depth 2
                                        ;     Child Loop BB21_20 Depth 2
	;; [unrolled: 1-line block ×3, first 2 shown]
	s_lshl_b32 s0, s30, 2
	s_delay_alu instid0(SALU_CYCLE_1) | instskip(NEXT) | instid1(SALU_CYCLE_1)
	s_ashr_i32 s1, s0, 31
	s_lshl_b64 s[0:1], s[0:1], 2
	s_wait_xcnt 0x0
	s_add_nc_u64 s[14:15], s[6:7], s[0:1]
	s_load_b96 s[0:2], s[14:15], 0x0
	s_wait_kmcnt 0x0
	s_cmp_le_i32 s2, s1
	s_cbranch_scc1 .LBB21_11
; %bb.13:                               ;   in Loop: Header=BB21_12 Depth=1
	s_wait_xcnt 0x0
	s_load_b32 s14, s[14:15], 0xc
	s_wait_kmcnt 0x0
	s_cmp_lt_i32 s14, s31
	s_wait_xcnt 0x0
	s_cselect_b32 s14, -1, 0
	s_cmp_lg_u32 s0, 0
	s_cselect_b32 s15, -1, 0
	s_delay_alu instid0(SALU_CYCLE_1) | instskip(NEXT) | instid1(SALU_CYCLE_1)
	s_and_b32 s14, s14, s15
	s_and_not1_b32 vcc_lo, exec_lo, s14
	s_cbranch_vccnz .LBB21_11
; %bb.14:                               ;   in Loop: Header=BB21_12 Depth=1
	s_mul_i32 s16, s1, s33
	s_delay_alu instid0(SALU_CYCLE_1)
	s_ashr_i32 s17, s16, 31
	s_cmp_gt_i32 s0, 0
	s_cselect_b32 s39, -1, 0
	s_sub_co_i32 s14, s2, s1
	s_and_saveexec_b32 s15, s36
	s_cbranch_execz .LBB21_18
; %bb.15:                               ;   in Loop: Header=BB21_12 Depth=1
	s_and_b32 s18, s39, exec_lo
	s_cselect_b32 s18, s1, s2
	s_mov_b32 s24, s2
	v_add_nc_u32_e32 v4, s18, v10
	s_add_co_i32 s18, s14, -1
	s_and_b32 s19, s39, exec_lo
	s_cselect_b32 s18, 0, s18
	s_ashr_i32 s25, s2, 31
	global_load_b64 v[0:1], v4, s[22:23] scale_offset
	v_dual_ashrrev_i32 v5, 31, v4 :: v_dual_add_nc_u32 v2, s0, v4
	s_ashr_i32 s19, s18, 31
	s_lshl_b64 s[26:27], s[16:17], 3
	s_lshl_b64 s[18:19], s[18:19], 3
	;; [unrolled: 1-line block ×3, first 2 shown]
	v_ashrrev_i32_e32 v3, 31, v2
	s_add_nc_u64 s[28:29], s[18:19], s[26:27]
	s_ashr_i32 s19, s1, 31
	s_mov_b32 s18, s1
	s_add_nc_u64 s[24:25], s[28:29], s[24:25]
	v_lshlrev_b64_e32 v[2:3], 3, v[2:3]
	s_lshl_b64 s[18:19], s[18:19], 3
	s_wait_xcnt 0x0
	v_lshl_add_u64 v[4:5], v[4:5], 3, s[22:23]
	s_sub_nc_u64 s[18:19], s[24:25], s[18:19]
	s_ashr_i32 s25, s0, 31
	s_mov_b32 s24, s0
	s_add_nc_u64 s[26:27], s[12:13], s[18:19]
	v_add_nc_u64_e32 v[6:7], s[22:23], v[2:3]
	s_lshl_b64 s[18:19], s[24:25], 3
	s_add_nc_u64 s[28:29], s[8:9], s[28:29]
	s_mov_b64 s[24:25], 0
	s_mov_b32 s40, s14
.LBB21_16:                              ;   Parent Loop BB21_12 Depth=1
                                        ; =>  This Inner Loop Header: Depth=2
	s_wait_xcnt 0x0
	s_delay_alu instid0(VALU_DEP_1)
	v_add_nc_u64_e32 v[14:15], s[24:25], v[6:7]
	s_add_nc_u64 s[42:43], s[28:29], s[24:25]
	s_add_nc_u64 s[44:45], s[26:27], s[24:25]
	s_add_co_i32 s40, s40, -1
	s_clause 0x1
	global_load_b64 v[16:17], v12, s[42:43]
	global_load_b64 v[18:19], v12, s[44:45]
	global_load_b64 v[20:21], v[14:15], off
	s_cmp_eq_u32 s40, 0
	s_wait_loadcnt 0x0
	s_wait_xcnt 0x0
	v_mul_f64_e32 v[14:15], v[20:21], v[18:19]
	s_delay_alu instid0(VALU_DEP_1) | instskip(SKIP_1) | instid1(VALU_DEP_1)
	v_fma_f64 v[14:15], v[0:1], v[16:17], -v[14:15]
	v_mul_f64_e32 v[0:1], v[0:1], v[18:19]
	v_fmac_f64_e32 v[0:1], v[20:21], v[16:17]
	v_add_nc_u64_e32 v[16:17], s[24:25], v[4:5]
	s_add_nc_u64 s[24:25], s[24:25], s[18:19]
	global_store_b64 v[16:17], v[14:15], off
	s_cbranch_scc0 .LBB21_16
; %bb.17:                               ;   in Loop: Header=BB21_12 Depth=1
	v_sub_nc_u64_e64 v[2:3], v[2:3], s[18:19]
	s_delay_alu instid0(VALU_DEP_1) | instskip(NEXT) | instid1(VALU_DEP_1)
	v_add_nc_u64_e32 v[2:3], s[22:23], v[2:3]
	v_add_nc_u64_e32 v[2:3], s[24:25], v[2:3]
	global_store_b64 v[2:3], v[0:1], off
.LBB21_18:                              ;   in Loop: Header=BB21_12 Depth=1
	s_wait_xcnt 0x0
	s_or_b32 exec_lo, exec_lo, s15
	s_lshl_b32 s15, s14, 1
	s_delay_alu instid0(SALU_CYCLE_1)
	s_add_co_i32 s15, s15, 2
	s_and_b32 s18, s35, exec_lo
	s_cselect_b32 s28, 0, s15
	s_and_saveexec_b32 s29, s37
	s_cbranch_execz .LBB21_22
; %bb.19:                               ;   in Loop: Header=BB21_12 Depth=1
	s_and_b32 s15, s39, exec_lo
	s_cselect_b32 s41, s1, s2
	s_add_co_i32 s15, s14, -1
	s_mul_i32 s40, s41, s3
	s_and_b32 s18, s39, exec_lo
	v_dual_mov_b32 v3, v9 :: v_dual_add_nc_u32 v0, s40, v9
	s_cselect_b32 s18, 0, s15
	s_ashr_i32 s15, s14, 31
	s_add_co_i32 s18, s28, s18
	global_load_b64 v[0:1], v0, s[20:21] scale_offset
	s_ashr_i32 s19, s18, 31
	s_lshl_b64 s[24:25], s[14:15], 3
	s_lshl_b64 s[26:27], s[16:17], 3
	;; [unrolled: 1-line block ×3, first 2 shown]
	s_add_nc_u64 s[18:19], s[24:25], 40
	s_add_nc_u64 s[24:25], s[26:27], s[42:43]
	s_ashr_i32 s27, s0, 31
	s_mov_b32 s26, s0
	s_add_co_i32 s41, s41, s0
	s_add_nc_u64 s[24:25], s[10:11], s[24:25]
	s_lshl_b64 s[26:27], s[26:27], 3
	s_mul_i32 s15, s3, s41
	s_mul_i32 s41, s3, s0
	s_mov_b32 s42, s14
.LBB21_20:                              ;   Parent Loop BB21_12 Depth=1
                                        ; =>  This Inner Loop Header: Depth=2
	s_wait_xcnt 0x1
	v_add_nc_u32_e32 v2, s15, v3
	s_add_nc_u64 s[44:45], s[24:25], s[18:19]
	s_add_co_i32 s42, s42, -1
	s_clause 0x1
	global_load_b64 v[4:5], v12, s[24:25] offset:32
	global_load_b64 v[6:7], v12, s[44:45]
	global_load_b64 v[14:15], v2, s[20:21] scale_offset
	s_cmp_eq_u32 s42, 0
	s_wait_xcnt 0x2
	s_add_nc_u64 s[24:25], s[24:25], s[26:27]
	s_wait_loadcnt 0x0
	v_mul_f64_e32 v[16:17], v[14:15], v[6:7]
	s_delay_alu instid0(VALU_DEP_1) | instskip(SKIP_1) | instid1(VALU_DEP_1)
	v_fma_f64 v[16:17], v[0:1], v[4:5], -v[16:17]
	v_mul_f64_e32 v[0:1], v[0:1], v[6:7]
	v_fmac_f64_e32 v[0:1], v[14:15], v[4:5]
	v_dual_add_nc_u32 v4, s40, v3 :: v_dual_add_nc_u32 v3, s41, v3
	global_store_b64 v4, v[16:17], s[20:21] scale_offset
	s_cbranch_scc0 .LBB21_20
; %bb.21:                               ;   in Loop: Header=BB21_12 Depth=1
	v_ashrrev_i32_e32 v3, 31, v2
	s_wait_xcnt 0x1
	s_delay_alu instid0(VALU_DEP_1)
	v_lshl_add_u64 v[2:3], v[2:3], 3, s[20:21]
	global_store_b64 v[2:3], v[0:1], off
.LBB21_22:                              ;   in Loop: Header=BB21_12 Depth=1
	s_wait_xcnt 0x0
	s_or_b32 exec_lo, exec_lo, s29
	s_and_saveexec_b32 s26, s38
	s_cbranch_execz .LBB21_10
; %bb.23:                               ;   in Loop: Header=BB21_12 Depth=1
	s_and_b32 s15, s39, exec_lo
	s_cselect_b32 s1, s1, s2
	s_delay_alu instid0(SALU_CYCLE_1)
	v_add_nc_u32_e32 v4, s1, v11
	s_add_co_i32 s1, s14, -1
	s_and_b32 s2, s39, exec_lo
	s_cselect_b32 s1, 0, s1
	s_lshl_b64 s[16:17], s[16:17], 3
	v_add_nc_u32_e32 v2, s0, v4
	s_add_co_i32 s18, s28, s1
	s_ashr_i32 s15, s14, 31
	s_ashr_i32 s19, s18, 31
	;; [unrolled: 1-line block ×3, first 2 shown]
	v_ashrrev_i32_e32 v3, 31, v2
	global_load_b64 v[0:1], v4, s[4:5] scale_offset
	v_ashrrev_i32_e32 v5, 31, v4
	s_lshl_b64 s[18:19], s[18:19], 3
	s_lshl_b64 s[0:1], s[0:1], 3
	v_lshlrev_b64_e32 v[2:3], 3, v[2:3]
	s_add_nc_u64 s[16:17], s[16:17], s[18:19]
	s_lshl_b64 s[18:19], s[14:15], 3
	s_wait_xcnt 0x0
	v_lshl_add_u64 v[4:5], v[4:5], 3, s[4:5]
	s_add_nc_u64 s[18:19], s[16:17], s[18:19]
	s_add_nc_u64 s[24:25], s[8:9], s[16:17]
	;; [unrolled: 1-line block ×3, first 2 shown]
	v_add_nc_u64_e32 v[6:7], s[4:5], v[2:3]
	s_mov_b64 s[16:17], 0
.LBB21_24:                              ;   Parent Loop BB21_12 Depth=1
                                        ; =>  This Inner Loop Header: Depth=2
	s_wait_xcnt 0x0
	s_delay_alu instid0(VALU_DEP_1)
	v_add_nc_u64_e32 v[14:15], s[16:17], v[6:7]
	s_add_nc_u64 s[28:29], s[24:25], s[16:17]
	s_add_nc_u64 s[40:41], s[18:19], s[16:17]
	s_add_co_i32 s14, s14, -1
	s_clause 0x1
	global_load_b64 v[16:17], v12, s[28:29]
	global_load_b64 v[18:19], v12, s[40:41]
	global_load_b64 v[20:21], v[14:15], off
	s_cmp_eq_u32 s14, 0
	s_wait_loadcnt 0x0
	s_wait_xcnt 0x0
	v_mul_f64_e32 v[14:15], v[20:21], v[18:19]
	s_delay_alu instid0(VALU_DEP_1) | instskip(SKIP_1) | instid1(VALU_DEP_1)
	v_fma_f64 v[14:15], v[0:1], v[16:17], -v[14:15]
	v_mul_f64_e32 v[0:1], v[0:1], v[18:19]
	v_fmac_f64_e32 v[0:1], v[20:21], v[16:17]
	v_add_nc_u64_e32 v[16:17], s[16:17], v[4:5]
	s_add_nc_u64 s[16:17], s[16:17], s[0:1]
	global_store_b64 v[16:17], v[14:15], off
	s_cbranch_scc0 .LBB21_24
	s_branch .LBB21_9
.LBB21_25:
	s_endpgm
	.section	.rodata,"a",@progbits
	.p2align	6, 0x0
	.amdhsa_kernel _ZN9rocsolver6v33100L12bdsqr_rotateIddPdS2_S2_EEviiiiT1_iilT2_iilT3_iiliPiPT0_ilS6_
		.amdhsa_group_segment_fixed_size 0
		.amdhsa_private_segment_fixed_size 0
		.amdhsa_kernarg_size 392
		.amdhsa_user_sgpr_count 2
		.amdhsa_user_sgpr_dispatch_ptr 0
		.amdhsa_user_sgpr_queue_ptr 0
		.amdhsa_user_sgpr_kernarg_segment_ptr 1
		.amdhsa_user_sgpr_dispatch_id 0
		.amdhsa_user_sgpr_kernarg_preload_length 0
		.amdhsa_user_sgpr_kernarg_preload_offset 0
		.amdhsa_user_sgpr_private_segment_size 0
		.amdhsa_wavefront_size32 1
		.amdhsa_uses_dynamic_stack 0
		.amdhsa_enable_private_segment 0
		.amdhsa_system_sgpr_workgroup_id_x 1
		.amdhsa_system_sgpr_workgroup_id_y 1
		.amdhsa_system_sgpr_workgroup_id_z 1
		.amdhsa_system_sgpr_workgroup_info 0
		.amdhsa_system_vgpr_workitem_id 0
		.amdhsa_next_free_vgpr 22
		.amdhsa_next_free_sgpr 46
		.amdhsa_named_barrier_count 0
		.amdhsa_reserve_vcc 1
		.amdhsa_float_round_mode_32 0
		.amdhsa_float_round_mode_16_64 0
		.amdhsa_float_denorm_mode_32 3
		.amdhsa_float_denorm_mode_16_64 3
		.amdhsa_fp16_overflow 0
		.amdhsa_memory_ordered 1
		.amdhsa_forward_progress 1
		.amdhsa_inst_pref_size 13
		.amdhsa_round_robin_scheduling 0
		.amdhsa_exception_fp_ieee_invalid_op 0
		.amdhsa_exception_fp_denorm_src 0
		.amdhsa_exception_fp_ieee_div_zero 0
		.amdhsa_exception_fp_ieee_overflow 0
		.amdhsa_exception_fp_ieee_underflow 0
		.amdhsa_exception_fp_ieee_inexact 0
		.amdhsa_exception_int_div_zero 0
	.end_amdhsa_kernel
	.section	.text._ZN9rocsolver6v33100L12bdsqr_rotateIddPdS2_S2_EEviiiiT1_iilT2_iilT3_iiliPiPT0_ilS6_,"axG",@progbits,_ZN9rocsolver6v33100L12bdsqr_rotateIddPdS2_S2_EEviiiiT1_iilT2_iilT3_iiliPiPT0_ilS6_,comdat
.Lfunc_end21:
	.size	_ZN9rocsolver6v33100L12bdsqr_rotateIddPdS2_S2_EEviiiiT1_iilT2_iilT3_iiliPiPT0_ilS6_, .Lfunc_end21-_ZN9rocsolver6v33100L12bdsqr_rotateIddPdS2_S2_EEviiiiT1_iilT2_iilT3_iiliPiPT0_ilS6_
                                        ; -- End function
	.set _ZN9rocsolver6v33100L12bdsqr_rotateIddPdS2_S2_EEviiiiT1_iilT2_iilT3_iiliPiPT0_ilS6_.num_vgpr, 22
	.set _ZN9rocsolver6v33100L12bdsqr_rotateIddPdS2_S2_EEviiiiT1_iilT2_iilT3_iiliPiPT0_ilS6_.num_agpr, 0
	.set _ZN9rocsolver6v33100L12bdsqr_rotateIddPdS2_S2_EEviiiiT1_iilT2_iilT3_iiliPiPT0_ilS6_.numbered_sgpr, 46
	.set _ZN9rocsolver6v33100L12bdsqr_rotateIddPdS2_S2_EEviiiiT1_iilT2_iilT3_iiliPiPT0_ilS6_.num_named_barrier, 0
	.set _ZN9rocsolver6v33100L12bdsqr_rotateIddPdS2_S2_EEviiiiT1_iilT2_iilT3_iiliPiPT0_ilS6_.private_seg_size, 0
	.set _ZN9rocsolver6v33100L12bdsqr_rotateIddPdS2_S2_EEviiiiT1_iilT2_iilT3_iiliPiPT0_ilS6_.uses_vcc, 1
	.set _ZN9rocsolver6v33100L12bdsqr_rotateIddPdS2_S2_EEviiiiT1_iilT2_iilT3_iiliPiPT0_ilS6_.uses_flat_scratch, 0
	.set _ZN9rocsolver6v33100L12bdsqr_rotateIddPdS2_S2_EEviiiiT1_iilT2_iilT3_iiliPiPT0_ilS6_.has_dyn_sized_stack, 0
	.set _ZN9rocsolver6v33100L12bdsqr_rotateIddPdS2_S2_EEviiiiT1_iilT2_iilT3_iiliPiPT0_ilS6_.has_recursion, 0
	.set _ZN9rocsolver6v33100L12bdsqr_rotateIddPdS2_S2_EEviiiiT1_iilT2_iilT3_iiliPiPT0_ilS6_.has_indirect_call, 0
	.section	.AMDGPU.csdata,"",@progbits
; Kernel info:
; codeLenInByte = 1664
; TotalNumSgprs: 48
; NumVgprs: 22
; ScratchSize: 0
; MemoryBound: 0
; FloatMode: 240
; IeeeMode: 1
; LDSByteSize: 0 bytes/workgroup (compile time only)
; SGPRBlocks: 0
; VGPRBlocks: 1
; NumSGPRsForWavesPerEU: 48
; NumVGPRsForWavesPerEU: 22
; NamedBarCnt: 0
; Occupancy: 16
; WaveLimiterHint : 1
; COMPUTE_PGM_RSRC2:SCRATCH_EN: 0
; COMPUTE_PGM_RSRC2:USER_SGPR: 2
; COMPUTE_PGM_RSRC2:TRAP_HANDLER: 0
; COMPUTE_PGM_RSRC2:TGID_X_EN: 1
; COMPUTE_PGM_RSRC2:TGID_Y_EN: 1
; COMPUTE_PGM_RSRC2:TGID_Z_EN: 1
; COMPUTE_PGM_RSRC2:TIDIG_COMP_CNT: 0
	.section	.text._ZN9rocsolver6v33100L22bdsqr_update_endpointsIddEEviPT0_lPiS3_lS4_,"axG",@progbits,_ZN9rocsolver6v33100L22bdsqr_update_endpointsIddEEviPT0_lPiS3_lS4_,comdat
	.globl	_ZN9rocsolver6v33100L22bdsqr_update_endpointsIddEEviPT0_lPiS3_lS4_ ; -- Begin function _ZN9rocsolver6v33100L22bdsqr_update_endpointsIddEEviPT0_lPiS3_lS4_
	.p2align	8
	.type	_ZN9rocsolver6v33100L22bdsqr_update_endpointsIddEEviPT0_lPiS3_lS4_,@function
_ZN9rocsolver6v33100L22bdsqr_update_endpointsIddEEviPT0_lPiS3_lS4_: ; @_ZN9rocsolver6v33100L22bdsqr_update_endpointsIddEEviPT0_lPiS3_lS4_
; %bb.0:
	s_load_b128 s[12:15], s[0:1], 0x28
	s_bfe_u32 s2, ttmp6, 0x40014
	s_lshr_b32 s3, ttmp7, 16
	s_add_co_i32 s2, s2, 1
	s_bfe_u32 s5, ttmp6, 0x40008
	s_mul_i32 s4, s3, s2
	s_getreg_b32 s2, hwreg(HW_REG_IB_STS2, 6, 4)
	s_add_co_i32 s5, s5, s4
	s_cmp_eq_u32 s2, 0
	s_mov_b32 s17, 0
	s_cselect_b32 s16, s3, s5
	s_wait_kmcnt 0x0
	s_load_b32 s3, s[14:15], s16 offset:0x8 scale_offset
	s_wait_kmcnt 0x0
	s_cmp_lg_u32 s3, 0
	s_cbranch_scc1 .LBB22_28
; %bb.1:
	s_load_b256 s[4:11], s[0:1], 0x8
	s_bfe_u32 s3, ttmp6, 0x40010
	s_and_b32 s14, ttmp7, 0xffff
	s_add_co_i32 s3, s3, 1
	s_bfe_u32 s15, ttmp6, 0x40004
	s_mul_i32 s3, s14, s3
	s_delay_alu instid0(SALU_CYCLE_1)
	s_add_co_i32 s15, s15, s3
	s_cmp_eq_u32 s2, 0
	s_mul_u64 s[2:3], s[12:13], s[16:17]
	s_cselect_b32 s20, s14, s15
	s_lshl_b64 s[2:3], s[2:3], 3
	s_wait_kmcnt 0x0
	s_add_nc_u64 s[2:3], s[10:11], s[2:3]
	s_load_b128 s[12:15], s[2:3], 0x8
	s_wait_kmcnt 0x0
	v_cvt_i32_f64_e32 v8, s[14:15]
	s_delay_alu instid0(VALU_DEP_1)
	v_cmp_ge_i32_e32 vcc_lo, s20, v8
	s_cbranch_vccnz .LBB22_28
; %bb.2:
	v_cvt_f64_i32_e32 v[4:5], v8
	s_clause 0x1
	s_load_b32 s10, s[0:1], 0x0
	s_load_b32 s21, s[0:1], 0x3c
	s_wait_xcnt 0x0
	s_mul_u64 s[0:1], s[6:7], s[16:17]
	v_mov_b64_e32 v[6:7], 0
	s_lshl_b64 s[0:1], s[0:1], 3
	v_mov_b32_e32 v9, 0
	s_add_nc_u64 s[4:5], s[4:5], s[0:1]
	s_wait_kmcnt 0x0
	s_mul_i32 s10, s16, s10
	s_delay_alu instid0(SALU_CYCLE_1) | instskip(NEXT) | instid1(SALU_CYCLE_1)
	s_lshl_b32 s6, s10, 1
	s_ashr_i32 s7, s6, 31
	s_delay_alu instid0(SALU_CYCLE_1) | instskip(NEXT) | instid1(SALU_CYCLE_1)
	s_lshl_b64 s[6:7], s[6:7], 2
	s_add_nc_u64 s[6:7], s[8:9], s[6:7]
	s_add_nc_u64 s[8:9], s[4:5], -8
	s_branch .LBB22_4
.LBB22_3:                               ;   in Loop: Header=BB22_4 Depth=1
	s_add_co_i32 s20, s21, s20
	s_wait_xcnt 0x0
	v_dual_mov_b32 v0, s22 :: v_dual_mov_b32 v1, s15
	v_cmp_lt_i32_e32 vcc_lo, s20, v8
	global_store_b64 v9, v[0:1], s[10:11] offset:4
	s_cbranch_vccz .LBB22_28
.LBB22_4:                               ; =>This Loop Header: Depth=1
                                        ;     Child Loop BB22_9 Depth 2
                                        ;     Child Loop BB22_14 Depth 2
	;; [unrolled: 1-line block ×3, first 2 shown]
	s_lshl_b32 s0, s20, 2
	s_delay_alu instid0(SALU_CYCLE_1) | instskip(NEXT) | instid1(SALU_CYCLE_1)
	s_ashr_i32 s1, s0, 31
	s_lshl_b64 s[0:1], s[0:1], 2
	s_wait_xcnt 0x0
	s_add_nc_u64 s[10:11], s[6:7], s[0:1]
	global_load_b128 v[0:3], v9, s[10:11]
	s_wait_loadcnt 0x0
	v_cmp_eq_u32_e64 s0, 0, v0
	v_readfirstlane_b32 s16, v1
	v_readfirstlane_b32 s14, v2
	v_mov_b32_e32 v2, v3
	s_and_b32 vcc_lo, exec_lo, s0
	s_cbranch_vccnz .LBB22_6
; %bb.5:                                ;   in Loop: Header=BB22_4 Depth=1
	s_sub_co_i32 s1, s14, s16
	s_delay_alu instid0(SALU_CYCLE_1)
	v_add_nc_u32_e32 v2, s1, v3
	global_store_b32 v9, v2, s[10:11] offset:12
.LBB22_6:                               ;   in Loop: Header=BB22_4 Depth=1
	s_cmp_le_i32 s14, s16
	s_cbranch_scc1 .LBB22_16
; %bb.7:                                ;   in Loop: Header=BB22_4 Depth=1
	s_ashr_i32 s17, s16, 31
	s_delay_alu instid0(SALU_CYCLE_1) | instskip(NEXT) | instid1(SALU_CYCLE_1)
	s_lshl_b64 s[18:19], s[16:17], 3
	s_add_nc_u64 s[18:19], s[4:5], s[18:19]
	s_branch .LBB22_9
.LBB22_8:                               ;   in Loop: Header=BB22_9 Depth=2
	s_add_co_i32 s16, s16, 1
	global_store_b64 v9, v[6:7], s[18:19]
	s_cmp_ge_i32 s16, s14
	s_wait_xcnt 0x0
	s_add_nc_u64 s[18:19], s[18:19], 8
	s_cselect_b32 s1, -1, 0
	s_mov_b32 s22, s14
	s_and_not1_b32 vcc_lo, exec_lo, s1
	s_cbranch_vccz .LBB22_11
.LBB22_9:                               ;   Parent Loop BB22_4 Depth=1
                                        ; =>  This Inner Loop Header: Depth=2
	global_load_b64 v[0:1], v9, s[18:19]
	s_wait_loadcnt 0x0
	v_cmp_nlt_f64_e64 s1, |v[0:1]|, s[12:13]
	s_and_b32 vcc_lo, exec_lo, s1
	s_mov_b32 s1, -1
	s_cbranch_vccz .LBB22_8
; %bb.10:                               ;   in Loop: Header=BB22_9 Depth=2
	s_mov_b32 s22, s16
                                        ; implicit-def: $sgpr16
                                        ; implicit-def: $sgpr18_sgpr19
	s_and_not1_b32 vcc_lo, exec_lo, s1
	s_cbranch_vccnz .LBB22_9
.LBB22_11:                              ;   in Loop: Header=BB22_4 Depth=1
	s_cmp_le_i32 s14, s22
	s_cbranch_scc1 .LBB22_17
.LBB22_12:                              ;   in Loop: Header=BB22_4 Depth=1
	s_ashr_i32 s15, s14, 31
	s_delay_alu instid0(SALU_CYCLE_1) | instskip(NEXT) | instid1(SALU_CYCLE_1)
	s_lshl_b64 s[16:17], s[14:15], 3
	s_add_nc_u64 s[16:17], s[8:9], s[16:17]
	s_branch .LBB22_14
.LBB22_13:                              ;   in Loop: Header=BB22_14 Depth=2
	s_add_co_i32 s14, s14, -1
	global_store_b64 v9, v[6:7], s[16:17]
	s_cmp_le_i32 s14, s22
	s_wait_xcnt 0x0
	s_add_nc_u64 s[16:17], s[16:17], -8
	s_cselect_b32 s1, -1, 0
	s_mov_b32 s15, s22
	s_and_not1_b32 vcc_lo, exec_lo, s1
	s_cbranch_vccz .LBB22_18
.LBB22_14:                              ;   Parent Loop BB22_4 Depth=1
                                        ; =>  This Inner Loop Header: Depth=2
	global_load_b64 v[0:1], v9, s[16:17]
	s_wait_loadcnt 0x0
	v_cmp_nlt_f64_e64 s1, |v[0:1]|, s[12:13]
	s_and_b32 vcc_lo, exec_lo, s1
	s_mov_b32 s1, -1
	s_cbranch_vccz .LBB22_13
; %bb.15:                               ;   in Loop: Header=BB22_14 Depth=2
	s_mov_b32 s15, s14
                                        ; implicit-def: $sgpr14
                                        ; implicit-def: $sgpr16_sgpr17
	s_and_not1_b32 vcc_lo, exec_lo, s1
	s_cbranch_vccnz .LBB22_14
	s_branch .LBB22_18
.LBB22_16:                              ;   in Loop: Header=BB22_4 Depth=1
	s_mov_b32 s22, s16
	s_delay_alu instid0(SALU_CYCLE_1)
	s_cmp_le_i32 s14, s22
	s_cbranch_scc0 .LBB22_12
.LBB22_17:                              ;   in Loop: Header=BB22_4 Depth=1
	s_mov_b32 s15, s14
.LBB22_18:                              ;   in Loop: Header=BB22_4 Depth=1
	s_delay_alu instid0(SALU_CYCLE_1) | instskip(SKIP_1) | instid1(SALU_CYCLE_1)
	s_cmp_lt_i32 s22, s15
	s_cselect_b32 s1, -1, 0
	s_and_b32 s0, s0, s1
	s_delay_alu instid0(SALU_CYCLE_1)
	s_and_not1_b32 vcc_lo, exec_lo, s0
	s_mov_b32 s0, s22
	s_cbranch_vccz .LBB22_20
	s_branch .LBB22_3
.LBB22_19:                              ;   in Loop: Header=BB22_20 Depth=2
	s_mov_b32 s0, s1
	s_delay_alu instid0(SALU_CYCLE_1)
	s_cmp_lt_i32 s0, s15
	s_cbranch_scc0 .LBB22_3
.LBB22_20:                              ;   Parent Loop BB22_4 Depth=1
                                        ; =>  This Inner Loop Header: Depth=2
	s_wait_xcnt 0x0
	v_mov_b32_e32 v0, s0
	s_mov_b32 s14, -1
	global_load_b64 v[0:1], v0, s[4:5] scale_offset
	s_wait_loadcnt 0x0
	v_cmp_lt_f64_e64 s1, |v[0:1]|, s[12:13]
	s_and_b32 vcc_lo, exec_lo, s1
                                        ; implicit-def: $sgpr1
	s_cbranch_vccnz .LBB22_22
; %bb.21:                               ;   in Loop: Header=BB22_20 Depth=2
	s_add_co_i32 s1, s0, 1
	s_mov_b32 s14, 0
.LBB22_22:                              ;   in Loop: Header=BB22_20 Depth=2
	s_delay_alu instid0(SALU_CYCLE_1)
	s_and_not1_b32 vcc_lo, exec_lo, s14
	s_cbranch_vccnz .LBB22_19
; %bb.23:                               ;   in Loop: Header=BB22_20 Depth=2
	s_ashr_i32 s1, s0, 31
	s_wait_xcnt 0x1
	s_lshl_b64 s[16:17], s[0:1], 3
	s_cmp_ge_i32 s22, s0
	s_add_nc_u64 s[16:17], s[4:5], s[16:17]
	global_store_b64 v9, v[6:7], s[16:17]
	s_cbranch_scc1 .LBB22_27
; %bb.24:                               ;   in Loop: Header=BB22_20 Depth=2
	s_mov_b32 s14, exec_lo
                                        ; implicit-def: $vgpr0_vgpr1
	s_delay_alu instid0(SALU_CYCLE_1) | instskip(NEXT) | instid1(VALU_DEP_1)
	v_mbcnt_lo_u32_b32 v3, s14, 0
	v_cmp_eq_u32_e32 vcc_lo, 0, v3
	s_wait_xcnt 0x0
	s_and_saveexec_b32 s1, vcc_lo
	s_cbranch_execz .LBB22_26
; %bb.25:                               ;   in Loop: Header=BB22_20 Depth=2
	s_bcnt1_i32_b32 s14, s14
	s_delay_alu instid0(SALU_CYCLE_1)
	v_cvt_f64_u32_e32 v[0:1], s14
	global_atomic_add_f64 v[0:1], v9, v[0:1], s[2:3] offset:24 th:TH_ATOMIC_RETURN scope:SCOPE_DEV
.LBB22_26:                              ;   in Loop: Header=BB22_20 Depth=2
	s_wait_xcnt 0x0
	s_or_b32 exec_lo, exec_lo, s1
	v_cvt_f64_u32_e32 v[10:11], v3
	s_wait_loadcnt 0x0
	v_readfirstlane_b32 s17, v1
	v_readfirstlane_b32 s16, v0
	s_delay_alu instid0(VALU_DEP_1) | instskip(NEXT) | instid1(VALU_DEP_1)
	v_add_f64_e32 v[0:1], s[16:17], v[10:11]
	v_cndmask_b32_e64 v1, v1, s17, vcc_lo
	s_delay_alu instid0(VALU_DEP_2) | instskip(NEXT) | instid1(VALU_DEP_1)
	v_cndmask_b32_e64 v0, v0, s16, vcc_lo
	v_add_f64_e32 v[0:1], v[0:1], v[4:5]
	s_delay_alu instid0(VALU_DEP_1) | instskip(NEXT) | instid1(VALU_DEP_1)
	v_cvt_i32_f64_e32 v0, v[0:1]
	v_dual_mov_b32 v1, s0 :: v_dual_lshlrev_b32 v10, 2, v0
	s_delay_alu instid0(VALU_DEP_1) | instskip(NEXT) | instid1(VALU_DEP_1)
	v_dual_mov_b32 v0, s22 :: v_dual_ashrrev_i32 v11, 31, v10
	v_lshl_add_u64 v[10:11], v[10:11], 2, s[6:7]
	global_store_b96 v[10:11], v[0:2], off offset:4
.LBB22_27:                              ;   in Loop: Header=BB22_20 Depth=2
	s_add_co_i32 s0, s0, 1
	s_delay_alu instid0(SALU_CYCLE_1)
	s_mov_b32 s22, s0
	s_cmp_lt_i32 s0, s15
	s_cbranch_scc1 .LBB22_20
	s_branch .LBB22_3
.LBB22_28:
	s_endpgm
	.section	.rodata,"a",@progbits
	.p2align	6, 0x0
	.amdhsa_kernel _ZN9rocsolver6v33100L22bdsqr_update_endpointsIddEEviPT0_lPiS3_lS4_
		.amdhsa_group_segment_fixed_size 0
		.amdhsa_private_segment_fixed_size 0
		.amdhsa_kernarg_size 312
		.amdhsa_user_sgpr_count 2
		.amdhsa_user_sgpr_dispatch_ptr 0
		.amdhsa_user_sgpr_queue_ptr 0
		.amdhsa_user_sgpr_kernarg_segment_ptr 1
		.amdhsa_user_sgpr_dispatch_id 0
		.amdhsa_user_sgpr_kernarg_preload_length 0
		.amdhsa_user_sgpr_kernarg_preload_offset 0
		.amdhsa_user_sgpr_private_segment_size 0
		.amdhsa_wavefront_size32 1
		.amdhsa_uses_dynamic_stack 0
		.amdhsa_enable_private_segment 0
		.amdhsa_system_sgpr_workgroup_id_x 1
		.amdhsa_system_sgpr_workgroup_id_y 1
		.amdhsa_system_sgpr_workgroup_id_z 1
		.amdhsa_system_sgpr_workgroup_info 0
		.amdhsa_system_vgpr_workitem_id 0
		.amdhsa_next_free_vgpr 12
		.amdhsa_next_free_sgpr 23
		.amdhsa_named_barrier_count 0
		.amdhsa_reserve_vcc 1
		.amdhsa_float_round_mode_32 0
		.amdhsa_float_round_mode_16_64 0
		.amdhsa_float_denorm_mode_32 3
		.amdhsa_float_denorm_mode_16_64 3
		.amdhsa_fp16_overflow 0
		.amdhsa_memory_ordered 1
		.amdhsa_forward_progress 1
		.amdhsa_inst_pref_size 8
		.amdhsa_round_robin_scheduling 0
		.amdhsa_exception_fp_ieee_invalid_op 0
		.amdhsa_exception_fp_denorm_src 0
		.amdhsa_exception_fp_ieee_div_zero 0
		.amdhsa_exception_fp_ieee_overflow 0
		.amdhsa_exception_fp_ieee_underflow 0
		.amdhsa_exception_fp_ieee_inexact 0
		.amdhsa_exception_int_div_zero 0
	.end_amdhsa_kernel
	.section	.text._ZN9rocsolver6v33100L22bdsqr_update_endpointsIddEEviPT0_lPiS3_lS4_,"axG",@progbits,_ZN9rocsolver6v33100L22bdsqr_update_endpointsIddEEviPT0_lPiS3_lS4_,comdat
.Lfunc_end22:
	.size	_ZN9rocsolver6v33100L22bdsqr_update_endpointsIddEEviPT0_lPiS3_lS4_, .Lfunc_end22-_ZN9rocsolver6v33100L22bdsqr_update_endpointsIddEEviPT0_lPiS3_lS4_
                                        ; -- End function
	.set _ZN9rocsolver6v33100L22bdsqr_update_endpointsIddEEviPT0_lPiS3_lS4_.num_vgpr, 12
	.set _ZN9rocsolver6v33100L22bdsqr_update_endpointsIddEEviPT0_lPiS3_lS4_.num_agpr, 0
	.set _ZN9rocsolver6v33100L22bdsqr_update_endpointsIddEEviPT0_lPiS3_lS4_.numbered_sgpr, 23
	.set _ZN9rocsolver6v33100L22bdsqr_update_endpointsIddEEviPT0_lPiS3_lS4_.num_named_barrier, 0
	.set _ZN9rocsolver6v33100L22bdsqr_update_endpointsIddEEviPT0_lPiS3_lS4_.private_seg_size, 0
	.set _ZN9rocsolver6v33100L22bdsqr_update_endpointsIddEEviPT0_lPiS3_lS4_.uses_vcc, 1
	.set _ZN9rocsolver6v33100L22bdsqr_update_endpointsIddEEviPT0_lPiS3_lS4_.uses_flat_scratch, 0
	.set _ZN9rocsolver6v33100L22bdsqr_update_endpointsIddEEviPT0_lPiS3_lS4_.has_dyn_sized_stack, 0
	.set _ZN9rocsolver6v33100L22bdsqr_update_endpointsIddEEviPT0_lPiS3_lS4_.has_recursion, 0
	.set _ZN9rocsolver6v33100L22bdsqr_update_endpointsIddEEviPT0_lPiS3_lS4_.has_indirect_call, 0
	.section	.AMDGPU.csdata,"",@progbits
; Kernel info:
; codeLenInByte = 1000
; TotalNumSgprs: 25
; NumVgprs: 12
; ScratchSize: 0
; MemoryBound: 0
; FloatMode: 240
; IeeeMode: 1
; LDSByteSize: 0 bytes/workgroup (compile time only)
; SGPRBlocks: 0
; VGPRBlocks: 0
; NumSGPRsForWavesPerEU: 25
; NumVGPRsForWavesPerEU: 12
; NamedBarCnt: 0
; Occupancy: 16
; WaveLimiterHint : 1
; COMPUTE_PGM_RSRC2:SCRATCH_EN: 0
; COMPUTE_PGM_RSRC2:USER_SGPR: 2
; COMPUTE_PGM_RSRC2:TRAP_HANDLER: 0
; COMPUTE_PGM_RSRC2:TGID_X_EN: 1
; COMPUTE_PGM_RSRC2:TGID_Y_EN: 1
; COMPUTE_PGM_RSRC2:TGID_Z_EN: 1
; COMPUTE_PGM_RSRC2:TIDIG_COMP_CNT: 0
	.section	.text._ZN9rocsolver6v33100L19bdsqr_chk_completedIddEEviiPiPT0_lS2_,"axG",@progbits,_ZN9rocsolver6v33100L19bdsqr_chk_completedIddEEviiPiPT0_lS2_,comdat
	.globl	_ZN9rocsolver6v33100L19bdsqr_chk_completedIddEEviiPiPT0_lS2_ ; -- Begin function _ZN9rocsolver6v33100L19bdsqr_chk_completedIddEEviiPiPT0_lS2_
	.p2align	8
	.type	_ZN9rocsolver6v33100L19bdsqr_chk_completedIddEEviiPiPT0_lS2_,@function
_ZN9rocsolver6v33100L19bdsqr_chk_completedIddEEviiPiPT0_lS2_: ; @_ZN9rocsolver6v33100L19bdsqr_chk_completedIddEEviiPiPT0_lS2_
; %bb.0:
	s_load_b256 s[4:11], s[0:1], 0x8
	s_bfe_u32 s2, ttmp6, 0x40010
	s_bfe_u32 s3, ttmp6, 0x40004
	s_add_co_i32 s2, s2, 1
	s_getreg_b32 s12, hwreg(HW_REG_IB_STS2, 6, 4)
	s_mul_i32 s2, ttmp7, s2
	s_delay_alu instid0(SALU_CYCLE_1) | instskip(SKIP_2) | instid1(SALU_CYCLE_1)
	s_add_co_i32 s3, s3, s2
	s_cmp_eq_u32 s12, 0
	s_cselect_b32 s12, ttmp7, s3
	s_ashr_i32 s13, s12, 31
	s_delay_alu instid0(SALU_CYCLE_1)
	s_lshl_b64 s[2:3], s[12:13], 2
	s_wait_kmcnt 0x0
	s_add_nc_u64 s[2:3], s[10:11], s[2:3]
	s_load_b32 s14, s[2:3], 0x8
	s_wait_kmcnt 0x0
	s_cmp_lg_u32 s14, 0
	s_cbranch_scc0 .LBB23_2
.LBB23_1:
	s_endpgm
.LBB23_2:
	s_mul_u64 s[8:9], s[8:9], s[12:13]
	v_mov_b32_e32 v2, 0
	s_lshl_b64 s[8:9], s[8:9], 3
	s_delay_alu instid0(SALU_CYCLE_1)
	s_add_nc_u64 s[8:9], s[6:7], s[8:9]
	s_load_b32 s6, s[10:11], 0x4
	s_load_b128 s[16:19], s[8:9], 0x10
	v_mov_b32_e32 v3, v2
	s_wait_kmcnt 0x0
	v_add_f64_e64 v[0:1], s[16:17], s[18:19]
	s_delay_alu instid0(VALU_DEP_1) | instskip(NEXT) | instid1(VALU_DEP_1)
	v_cvt_i32_f64_e32 v4, v[0:1]
	v_cvt_f64_i32_e32 v[0:1], v4
	v_cmp_ge_i32_e32 vcc_lo, s6, v4
	global_store_b128 v2, v[0:3], s[8:9] offset:16
	s_cbranch_vccnz .LBB23_6
; %bb.3:
	v_mov_b32_e32 v5, s6
	s_mov_b32 s6, 0
.LBB23_4:                               ; =>This Inner Loop Header: Depth=1
	s_wait_xcnt 0x0
	global_atomic_cmpswap_b32 v5, v2, v[4:5], s[10:11] offset:4 th:TH_ATOMIC_RETURN scope:SCOPE_DEV
	s_wait_loadcnt 0x0
	v_cmp_ge_i32_e32 vcc_lo, v5, v4
	s_or_b32 s6, vcc_lo, s6
	s_wait_xcnt 0x0
	s_and_not1_b32 exec_lo, exec_lo, s6
	s_cbranch_execnz .LBB23_4
; %bb.5:
	s_or_b32 exec_lo, exec_lo, s6
.LBB23_6:
	v_cmp_gt_i32_e32 vcc_lo, 1, v4
	s_cbranch_vccnz .LBB23_14
; %bb.7:
	s_load_b64 s[0:1], s[0:1], 0x0
	v_mov_b32_e32 v0, 0
	s_wait_kmcnt 0x0
	s_mul_i32 s0, s12, s0
	s_delay_alu instid0(SALU_CYCLE_1) | instskip(NEXT) | instid1(SALU_CYCLE_1)
	s_lshl_b32 s6, s0, 1
	s_ashr_i32 s7, s6, 31
	s_delay_alu instid0(SALU_CYCLE_1) | instskip(NEXT) | instid1(SALU_CYCLE_1)
	s_lshl_b64 s[6:7], s[6:7], 2
	s_add_nc_u64 s[4:5], s[4:5], s[6:7]
	s_delay_alu instid0(SALU_CYCLE_1)
	s_add_nc_u64 s[4:5], s[4:5], 12
	s_branch .LBB23_9
.LBB23_8:                               ;   in Loop: Header=BB23_9 Depth=1
	v_add_nc_u32_e32 v4, -1, v4
	s_wait_xcnt 0x0
	s_add_nc_u64 s[4:5], s[4:5], 16
	s_mov_b32 s0, 0
	s_delay_alu instid0(VALU_DEP_1)
	v_cmp_eq_u32_e64 s6, 0, v4
	s_and_not1_b32 vcc_lo, exec_lo, s6
	s_cbranch_vccz .LBB23_13
.LBB23_9:                               ; =>This Inner Loop Header: Depth=1
	global_load_b64 v[2:3], v0, s[4:5] offset:-8
	s_mov_b32 s0, -1
	s_wait_loadcnt 0x0
	v_cmp_ge_i32_e32 vcc_lo, v2, v3
	s_cbranch_vccnz .LBB23_11
; %bb.10:                               ;   in Loop: Header=BB23_9 Depth=1
	global_load_b32 v1, v0, s[4:5]
	s_wait_loadcnt 0x0
	v_cmp_le_i32_e64 s0, s1, v1
.LBB23_11:                              ;   in Loop: Header=BB23_9 Depth=1
	s_delay_alu instid0(VALU_DEP_1)
	s_and_not1_b32 vcc_lo, exec_lo, s0
	s_cbranch_vccz .LBB23_8
; %bb.12:
	s_mov_b32 s0, -1
                                        ; implicit-def: $vgpr4
                                        ; implicit-def: $sgpr4_sgpr5
.LBB23_13:
	s_delay_alu instid0(SALU_CYCLE_1) | instskip(NEXT) | instid1(SALU_CYCLE_1)
	s_xor_b32 s0, s0, -1
	s_and_b32 vcc_lo, exec_lo, s0
	s_cbranch_vccz .LBB23_1
	s_branch .LBB23_15
.LBB23_14:
	s_cbranch_execz .LBB23_1
.LBB23_15:
	s_mov_b32 s0, exec_lo
	s_wait_xcnt 0x0
	v_dual_mov_b32 v0, 0 :: v_dual_mov_b32 v2, 1
	v_mbcnt_lo_u32_b32 v1, s0, 0
	s_mov_b32 s1, exec_lo
	global_store_b32 v0, v2, s[2:3] offset:8
	s_wait_xcnt 0x0
	v_cmpx_eq_u32_e32 0, v1
	s_cbranch_execz .LBB23_1
; %bb.16:
	s_bcnt1_i32_b32 s0, s0
	s_delay_alu instid0(SALU_CYCLE_1)
	v_mov_b32_e32 v1, s0
	global_atomic_add_u32 v0, v1, s[10:11] scope:SCOPE_DEV
	s_endpgm
	.section	.rodata,"a",@progbits
	.p2align	6, 0x0
	.amdhsa_kernel _ZN9rocsolver6v33100L19bdsqr_chk_completedIddEEviiPiPT0_lS2_
		.amdhsa_group_segment_fixed_size 0
		.amdhsa_private_segment_fixed_size 0
		.amdhsa_kernarg_size 40
		.amdhsa_user_sgpr_count 2
		.amdhsa_user_sgpr_dispatch_ptr 0
		.amdhsa_user_sgpr_queue_ptr 0
		.amdhsa_user_sgpr_kernarg_segment_ptr 1
		.amdhsa_user_sgpr_dispatch_id 0
		.amdhsa_user_sgpr_kernarg_preload_length 0
		.amdhsa_user_sgpr_kernarg_preload_offset 0
		.amdhsa_user_sgpr_private_segment_size 0
		.amdhsa_wavefront_size32 1
		.amdhsa_uses_dynamic_stack 0
		.amdhsa_enable_private_segment 0
		.amdhsa_system_sgpr_workgroup_id_x 1
		.amdhsa_system_sgpr_workgroup_id_y 1
		.amdhsa_system_sgpr_workgroup_id_z 0
		.amdhsa_system_sgpr_workgroup_info 0
		.amdhsa_system_vgpr_workitem_id 0
		.amdhsa_next_free_vgpr 6
		.amdhsa_next_free_sgpr 20
		.amdhsa_named_barrier_count 0
		.amdhsa_reserve_vcc 1
		.amdhsa_float_round_mode_32 0
		.amdhsa_float_round_mode_16_64 0
		.amdhsa_float_denorm_mode_32 3
		.amdhsa_float_denorm_mode_16_64 3
		.amdhsa_fp16_overflow 0
		.amdhsa_memory_ordered 1
		.amdhsa_forward_progress 1
		.amdhsa_inst_pref_size 4
		.amdhsa_round_robin_scheduling 0
		.amdhsa_exception_fp_ieee_invalid_op 0
		.amdhsa_exception_fp_denorm_src 0
		.amdhsa_exception_fp_ieee_div_zero 0
		.amdhsa_exception_fp_ieee_overflow 0
		.amdhsa_exception_fp_ieee_underflow 0
		.amdhsa_exception_fp_ieee_inexact 0
		.amdhsa_exception_int_div_zero 0
	.end_amdhsa_kernel
	.section	.text._ZN9rocsolver6v33100L19bdsqr_chk_completedIddEEviiPiPT0_lS2_,"axG",@progbits,_ZN9rocsolver6v33100L19bdsqr_chk_completedIddEEviiPiPT0_lS2_,comdat
.Lfunc_end23:
	.size	_ZN9rocsolver6v33100L19bdsqr_chk_completedIddEEviiPiPT0_lS2_, .Lfunc_end23-_ZN9rocsolver6v33100L19bdsqr_chk_completedIddEEviiPiPT0_lS2_
                                        ; -- End function
	.set _ZN9rocsolver6v33100L19bdsqr_chk_completedIddEEviiPiPT0_lS2_.num_vgpr, 6
	.set _ZN9rocsolver6v33100L19bdsqr_chk_completedIddEEviiPiPT0_lS2_.num_agpr, 0
	.set _ZN9rocsolver6v33100L19bdsqr_chk_completedIddEEviiPiPT0_lS2_.numbered_sgpr, 20
	.set _ZN9rocsolver6v33100L19bdsqr_chk_completedIddEEviiPiPT0_lS2_.num_named_barrier, 0
	.set _ZN9rocsolver6v33100L19bdsqr_chk_completedIddEEviiPiPT0_lS2_.private_seg_size, 0
	.set _ZN9rocsolver6v33100L19bdsqr_chk_completedIddEEviiPiPT0_lS2_.uses_vcc, 1
	.set _ZN9rocsolver6v33100L19bdsqr_chk_completedIddEEviiPiPT0_lS2_.uses_flat_scratch, 0
	.set _ZN9rocsolver6v33100L19bdsqr_chk_completedIddEEviiPiPT0_lS2_.has_dyn_sized_stack, 0
	.set _ZN9rocsolver6v33100L19bdsqr_chk_completedIddEEviiPiPT0_lS2_.has_recursion, 0
	.set _ZN9rocsolver6v33100L19bdsqr_chk_completedIddEEviiPiPT0_lS2_.has_indirect_call, 0
	.section	.AMDGPU.csdata,"",@progbits
; Kernel info:
; codeLenInByte = 508
; TotalNumSgprs: 22
; NumVgprs: 6
; ScratchSize: 0
; MemoryBound: 0
; FloatMode: 240
; IeeeMode: 1
; LDSByteSize: 0 bytes/workgroup (compile time only)
; SGPRBlocks: 0
; VGPRBlocks: 0
; NumSGPRsForWavesPerEU: 22
; NumVGPRsForWavesPerEU: 6
; NamedBarCnt: 0
; Occupancy: 16
; WaveLimiterHint : 0
; COMPUTE_PGM_RSRC2:SCRATCH_EN: 0
; COMPUTE_PGM_RSRC2:USER_SGPR: 2
; COMPUTE_PGM_RSRC2:TRAP_HANDLER: 0
; COMPUTE_PGM_RSRC2:TGID_X_EN: 1
; COMPUTE_PGM_RSRC2:TGID_Y_EN: 1
; COMPUTE_PGM_RSRC2:TGID_Z_EN: 0
; COMPUTE_PGM_RSRC2:TIDIG_COMP_CNT: 0
	.section	.text._ZN9rocsolver6v33100L14bdsqr_finalizeIddPdS2_S2_EEviiiiPT0_lS4_lT1_iilT2_iilT3_iilPiS8_S8_,"axG",@progbits,_ZN9rocsolver6v33100L14bdsqr_finalizeIddPdS2_S2_EEviiiiPT0_lS4_lT1_iilT2_iilT3_iilPiS8_S8_,comdat
	.globl	_ZN9rocsolver6v33100L14bdsqr_finalizeIddPdS2_S2_EEviiiiPT0_lS4_lT1_iilT2_iilT3_iilPiS8_S8_ ; -- Begin function _ZN9rocsolver6v33100L14bdsqr_finalizeIddPdS2_S2_EEviiiiPT0_lS4_lT1_iilT2_iilT3_iilPiS8_S8_
	.p2align	8
	.type	_ZN9rocsolver6v33100L14bdsqr_finalizeIddPdS2_S2_EEviiiiPT0_lS4_lT1_iilT2_iilT3_iilPiS8_S8_,@function
_ZN9rocsolver6v33100L14bdsqr_finalizeIddPdS2_S2_EEviiiiPT0_lS4_lT1_iilT2_iilT3_iilPiS8_S8_: ; @_ZN9rocsolver6v33100L14bdsqr_finalizeIddPdS2_S2_EEviiiiPT0_lS4_lT1_iilT2_iilT3_iilPiS8_S8_
; %bb.0:
	s_load_b256 s[36:43], s[0:1], 0x70
	s_bfe_u32 s2, ttmp6, 0x40010
	s_bfe_u32 s3, ttmp6, 0x40004
	s_add_co_i32 s2, s2, 1
	s_getreg_b32 s4, hwreg(HW_REG_IB_STS2, 6, 4)
	s_mul_i32 s2, ttmp7, s2
	s_mov_b32 s32, 0
	s_add_co_i32 s3, s3, s2
	s_cmp_eq_u32 s4, 0
	s_cselect_b32 s8, ttmp7, s3
	s_delay_alu instid0(SALU_CYCLE_1) | instskip(NEXT) | instid1(SALU_CYCLE_1)
	s_ashr_i32 s9, s8, 31
	s_lshl_b64 s[22:23], s[8:9], 2
	s_wait_kmcnt 0x0
	s_add_nc_u64 s[2:3], s[42:43], s[22:23]
	s_load_b32 s2, s[2:3], 0x8
	s_wait_kmcnt 0x0
	s_cmp_gt_i32 s2, 1
	s_cbranch_scc1 .LBB24_311
; %bb.1:
	s_clause 0x2
	s_load_b64 s[2:3], s[0:1], 0x9c
	s_load_b256 s[44:51], s[0:1], 0x30
	s_load_b256 s[52:59], s[0:1], 0x10
	s_mov_b64 s[28:29], 0
	s_mov_b64 s[34:35], 0
	s_wait_kmcnt 0x0
	s_and_b32 s3, s3, 0xffff
	s_cmp_eq_u64 s[44:45], 0
	s_cbranch_scc1 .LBB24_3
; %bb.2:
	s_mul_u64 s[4:5], s[48:49], s[8:9]
	s_ashr_i32 s7, s46, 31
	s_lshl_b64 s[4:5], s[4:5], 3
	s_mov_b32 s6, s46
	s_add_nc_u64 s[4:5], s[44:45], s[4:5]
	s_lshl_b64 s[6:7], s[6:7], 3
	s_delay_alu instid0(SALU_CYCLE_1)
	s_add_nc_u64 s[34:35], s[4:5], s[6:7]
.LBB24_3:
	s_clause 0x1
	s_load_b64 s[42:43], s[0:1], 0x50
	s_load_b128 s[4:7], s[0:1], 0x58
	s_cmp_eq_u64 s[50:51], 0
	s_cbranch_scc1 .LBB24_5
; %bb.4:
	s_wait_kmcnt 0x0
	s_mul_u64 s[4:5], s[4:5], s[8:9]
	s_ashr_i32 s11, s42, 31
	s_lshl_b64 s[4:5], s[4:5], 3
	s_mov_b32 s10, s42
	s_add_nc_u64 s[4:5], s[50:51], s[4:5]
	s_lshl_b64 s[10:11], s[10:11], 3
	s_delay_alu instid0(SALU_CYCLE_1)
	s_add_nc_u64 s[28:29], s[4:5], s[10:11]
.LBB24_5:
	s_load_b64 s[48:49], s[0:1], 0x68
	s_wait_kmcnt 0x0
	s_cmp_eq_u64 s[6:7], 0
	s_mov_b64 s[44:45], 0
	s_cbranch_scc1 .LBB24_7
; %bb.6:
	s_mul_u64 s[4:5], s[36:37], s[8:9]
	s_ashr_i32 s11, s48, 31
	s_lshl_b64 s[4:5], s[4:5], 3
	s_mov_b32 s10, s48
	s_add_nc_u64 s[4:5], s[6:7], s[4:5]
	s_lshl_b64 s[6:7], s[10:11], 3
	s_delay_alu instid0(SALU_CYCLE_1)
	s_add_nc_u64 s[44:45], s[4:5], s[6:7]
.LBB24_7:
	v_and_b32_e32 v42, 0x3ff, v0
	v_bfe_u32 v43, v0, 10, 10
	s_and_b32 s21, s2, 0xffff
	s_load_b128 s[24:27], s[0:1], 0x0
	v_bfe_u32 v44, v0, 20, 10
	s_lshr_b32 s2, s2, 16
	v_mad_u32_u24 v1, v43, s21, v42
	s_mul_i32 s46, s2, s21
	s_mul_u64 s[4:5], s[54:55], s[8:9]
	s_and_b32 s3, s3, 0xffff
	s_lshl_b64 s[50:51], s[4:5], 3
	v_mad_u32 v41, s46, v44, v1
	s_add_nc_u64 s[36:37], s[52:53], s[50:51]
	s_mul_i32 s46, s46, s3
	s_delay_alu instid0(VALU_DEP_1)
	v_cmp_eq_u32_e64 s2, 0, v41
	s_wait_kmcnt 0x0
	s_cmp_lt_i32 s24, 1
	s_cbranch_scc1 .LBB24_22
; %bb.8:
	s_mul_u64 s[4:5], s[58:59], s[8:9]
	s_add_co_i32 s9, s24, -1
	s_lshl_b64 s[4:5], s[4:5], 3
	v_cmp_gt_u32_e64 s3, s25, v41
	v_mov_b32_e32 v1, 0
	s_cmp_lg_u32 s25, 0
	s_mov_b32 s7, 0
	s_add_nc_u64 s[4:5], s[56:57], s[4:5]
	s_cselect_b32 s16, -1, 0
	s_ashr_i32 s11, s47, 31
	s_mov_b32 s10, s47
	s_mov_b32 s6, s7
	;; [unrolled: 1-line block ×3, first 2 shown]
	s_branch .LBB24_11
.LBB24_9:                               ;   in Loop: Header=BB24_11 Depth=1
	s_wait_xcnt 0x0
	s_or_b32 exec_lo, exec_lo, s14
.LBB24_10:                              ;   in Loop: Header=BB24_11 Depth=1
	s_add_co_i32 s6, s6, 1
	s_delay_alu instid0(SALU_CYCLE_1)
	s_cmp_eq_u32 s6, s24
	s_cbranch_scc1 .LBB24_23
.LBB24_11:                              ; =>This Loop Header: Depth=1
                                        ;     Child Loop BB24_18 Depth 2
	s_cmp_ge_i32 s6, s9
	s_cbranch_scc1 .LBB24_14
; %bb.12:                               ;   in Loop: Header=BB24_11 Depth=1
	s_wait_xcnt 0x0
	s_lshl_b64 s[12:13], s[6:7], 3
	s_delay_alu instid0(SALU_CYCLE_1)
	s_add_nc_u64 s[12:13], s[4:5], s[12:13]
	global_load_b64 v[2:3], v1, s[12:13]
	s_wait_loadcnt 0x0
	v_cmp_eq_f64_e32 vcc_lo, 0, v[2:3]
	s_cbranch_vccnz .LBB24_14
; %bb.13:                               ;   in Loop: Header=BB24_11 Depth=1
	s_add_co_i32 s42, s42, 1
.LBB24_14:                              ;   in Loop: Header=BB24_11 Depth=1
	s_lshl_b64 s[14:15], s[6:7], 3
	s_wait_xcnt 0x0
	s_add_nc_u64 s[12:13], s[36:37], s[14:15]
	global_load_b64 v[2:3], v1, s[12:13]
	s_wait_loadcnt 0x0
	v_cmp_ngt_f64_e32 vcc_lo, 0, v[2:3]
	s_cbranch_vccnz .LBB24_10
; %bb.15:                               ;   in Loop: Header=BB24_11 Depth=1
	s_and_not1_b32 vcc_lo, exec_lo, s16
	s_cbranch_vccnz .LBB24_20
; %bb.16:                               ;   in Loop: Header=BB24_11 Depth=1
	s_wait_xcnt 0x0
	s_and_saveexec_b32 s17, s3
	s_cbranch_execz .LBB24_19
; %bb.17:                               ;   in Loop: Header=BB24_11 Depth=1
	v_mov_b32_e32 v0, v41
	s_add_nc_u64 s[14:15], s[34:35], s[14:15]
	s_mov_b32 s18, 0
.LBB24_18:                              ;   Parent Loop BB24_11 Depth=1
                                        ; =>  This Inner Loop Header: Depth=2
	s_delay_alu instid0(VALU_DEP_1) | instskip(SKIP_1) | instid1(VALU_DEP_1)
	v_mul_u64_e32 v[2:3], s[10:11], v[0:1]
	v_add_nc_u32_e32 v0, s46, v0
	v_cmp_le_u32_e32 vcc_lo, s25, v0
	s_or_b32 s18, vcc_lo, s18
	s_delay_alu instid0(VALU_DEP_3)
	v_lshl_add_u64 v[2:3], v[2:3], 3, s[14:15]
	global_load_b64 v[4:5], v[2:3], off
	s_wait_loadcnt 0x0
	v_xor_b32_e32 v5, 0x80000000, v5
	global_store_b64 v[2:3], v[4:5], off
	s_wait_xcnt 0x0
	s_and_not1_b32 exec_lo, exec_lo, s18
	s_cbranch_execnz .LBB24_18
.LBB24_19:                              ;   in Loop: Header=BB24_11 Depth=1
	s_or_b32 exec_lo, exec_lo, s17
	s_wait_storecnt 0x0
	s_barrier_signal -1
	s_barrier_wait -1
.LBB24_20:                              ;   in Loop: Header=BB24_11 Depth=1
	s_wait_xcnt 0x0
	s_and_saveexec_b32 s14, s2
	s_cbranch_execz .LBB24_9
; %bb.21:                               ;   in Loop: Header=BB24_11 Depth=1
	global_load_b64 v[2:3], v1, s[12:13]
	s_wait_loadcnt 0x0
	v_xor_b32_e32 v3, 0x80000000, v3
	global_store_b64 v1, v[2:3], s[12:13]
	s_branch .LBB24_9
.LBB24_22:
	s_mov_b32 s42, 0
.LBB24_23:
	s_delay_alu instid0(SALU_CYCLE_1)
	s_cmp_lt_i32 s42, 1
	s_mov_b32 s2, -1
	s_cbranch_scc0 .LBB24_308
; %bb.24:
	s_mul_i32 s2, s8, s24
	s_mov_b32 s54, 0
	s_lshl_b32 s2, s2, 1
	s_wait_storecnt 0x0
	s_ashr_i32 s3, s2, 31
	s_barrier_signal -1
	s_lshl_b64 s[2:3], s[2:3], 2
	s_cmp_lg_u64 s[40:41], 0
	s_add_nc_u64 s[2:3], s[40:41], s[2:3]
	s_barrier_wait -1
	s_cselect_b32 s41, s3, 0
	s_cselect_b32 s40, s2, 0
	s_delay_alu instid0(SALU_CYCLE_1)
	s_cmp_lg_u64 s[40:41], 0
	s_cbranch_scc0 .LBB24_43
; %bb.25:
	s_or_b32 s2, s26, s25
	s_delay_alu instid0(SALU_CYCLE_1) | instskip(SKIP_4) | instid1(SALU_CYCLE_1)
	s_or_b32 s2, s2, s27
	s_cmp_gt_i32 s24, 0
	s_cselect_b32 s57, -1, 0
	s_cmp_lg_u64 s[52:53], 0
	s_cselect_b32 s3, -1, 0
	s_and_b32 s48, s57, s3
	s_cmp_eq_u32 s2, 0
	s_cbranch_scc1 .LBB24_44
; %bb.26:
	s_mov_b32 s58, -1
	s_mov_b32 s56, 0
	s_and_b32 vcc_lo, exec_lo, s48
	s_cbranch_vccz .LBB24_142
; %bb.27:
	s_mov_b32 s2, exec_lo
	s_barrier_signal -1
	s_barrier_wait -1
	s_wait_xcnt 0x0
	v_cmpx_gt_u32_e64 s24, v41
	s_cbranch_execz .LBB24_30
; %bb.28:
	v_mov_b32_e32 v0, v41
	s_mov_b32 s3, 0
.LBB24_29:                              ; =>This Inner Loop Header: Depth=1
	global_store_b32 v0, v0, s[40:41] scale_offset
	s_wait_xcnt 0x0
	v_add_nc_u32_e32 v0, s46, v0
	s_delay_alu instid0(VALU_DEP_1) | instskip(SKIP_1) | instid1(SALU_CYCLE_1)
	v_cmp_le_u32_e32 vcc_lo, s24, v0
	s_or_b32 s3, vcc_lo, s3
	s_and_not1_b32 exec_lo, exec_lo, s3
	s_cbranch_execnz .LBB24_29
.LBB24_30:
	s_or_b32 exec_lo, exec_lo, s2
	v_or3_b32 v0, v43, v44, v42
	s_mov_b32 s14, exec_lo
	s_wait_storecnt 0x0
	s_barrier_signal -1
	s_barrier_wait -1
	v_cmpx_eq_u32_e32 0, v0
	s_cbranch_execz .LBB24_126
; %bb.31:
	s_cmp_lt_u32 s24, 0x2be
	s_cbranch_scc1 .LBB24_45
; %bb.32:
	v_mov_b32_e32 v4, 0
	s_mov_b64 s[2:3], 0xfffffffffffff50c
	s_mov_b64 s[4:5], 0xffffffffffffea18
	s_add_nc_u64 s[6:7], s[40:41], 0xaf4
	s_movk_i32 s15, 0x2bd
	s_movk_i32 s16, 0x57a
	s_mov_b64 s[8:9], s[36:37]
	s_branch .LBB24_34
.LBB24_33:                              ;   in Loop: Header=BB24_34 Depth=1
	v_mov_b32_e32 v2, s10
	s_add_co_i32 s15, s15, 1
	s_add_co_i32 s16, s16, 1
	s_add_nc_u64 s[6:7], s[6:7], 4
	s_add_nc_u64 s[8:9], s[8:9], 8
	s_cmp_eq_u32 s15, s24
	s_clause 0x1
	global_store_b64 v2, v[0:1], s[36:37] scale_offset
	global_store_b32 v2, v5, s[40:41] scale_offset
	s_cbranch_scc1 .LBB24_45
.LBB24_34:                              ; =>This Loop Header: Depth=1
                                        ;     Child Loop BB24_35 Depth 2
	s_wait_xcnt 0x0
	v_mov_b32_e32 v2, s15
	s_mov_b64 s[10:11], s[8:9]
	s_mov_b64 s[12:13], s[6:7]
	s_mov_b32 s17, s16
	s_clause 0x1
	global_load_b64 v[0:1], v2, s[36:37] scale_offset
	global_load_b32 v5, v2, s[40:41] scale_offset
.LBB24_35:                              ;   Parent Loop BB24_34 Depth=1
                                        ; =>  This Inner Loop Header: Depth=2
	global_load_b64 v[2:3], v4, s[10:11]
	s_mov_b32 s19, -1
	s_mov_b32 s20, -1
                                        ; implicit-def: $sgpr18
	s_wait_loadcnt 0x0
	v_cmp_nlt_f64_e32 vcc_lo, v[2:3], v[0:1]
	s_cbranch_vccnz .LBB24_37
; %bb.36:                               ;   in Loop: Header=BB24_35 Depth=2
	global_load_b32 v6, v4, s[12:13] offset:-2804
	s_add_co_i32 s18, s17, 0xfffffd43
	s_add_nc_u64 s[30:31], s[12:13], s[2:3]
	s_cmp_lt_i32 s18, 0x57a
	global_store_b64 v4, v[2:3], s[10:11] offset:5608
	s_wait_xcnt 0x0
	s_add_nc_u64 s[10:11], s[10:11], s[4:5]
	s_mov_b32 s19, 0
	s_cselect_b32 s20, -1, 0
	s_wait_loadcnt 0x0
	global_store_b32 v4, v6, s[12:13]
	s_wait_xcnt 0x0
	s_mov_b64 s[12:13], s[30:31]
.LBB24_37:                              ;   in Loop: Header=BB24_35 Depth=2
	s_and_not1_b32 vcc_lo, exec_lo, s20
	s_cbranch_vccz .LBB24_39
; %bb.38:                               ;   in Loop: Header=BB24_35 Depth=2
	s_mov_b32 s17, s18
	s_branch .LBB24_35
.LBB24_39:                              ;   in Loop: Header=BB24_34 Depth=1
	s_and_not1_b32 vcc_lo, exec_lo, s19
	s_wait_xcnt 0x0
	s_mov_b32 s11, -1
                                        ; implicit-def: $sgpr10
	s_cbranch_vccz .LBB24_41
; %bb.40:                               ;   in Loop: Header=BB24_34 Depth=1
	s_add_co_i32 s10, s18, 0xfffffd43
	s_mov_b32 s11, 0
.LBB24_41:                              ;   in Loop: Header=BB24_34 Depth=1
	s_delay_alu instid0(SALU_CYCLE_1)
	s_and_not1_b32 vcc_lo, exec_lo, s11
	s_cbranch_vccnz .LBB24_33
; %bb.42:                               ;   in Loop: Header=BB24_34 Depth=1
	s_add_co_i32 s10, s17, 0xfffffd43
	s_branch .LBB24_33
.LBB24_43:
	s_branch .LBB24_284
.LBB24_44:
	s_mov_b32 s56, 0
	s_cbranch_execnz .LBB24_168
	s_branch .LBB24_279
.LBB24_45:
	s_cmp_lt_i32 s24, 0x12e
	s_cbranch_scc1 .LBB24_57
; %bb.46:
	v_mov_b32_e32 v4, 0
	s_mov_b64 s[2:3], 0xfffffffffffffb4c
	s_mov_b64 s[4:5], 0xfffffffffffff698
	s_add_nc_u64 s[6:7], s[40:41], 0x4b4
	s_movk_i32 s15, 0x12d
	s_movk_i32 s16, 0x25a
	s_mov_b64 s[8:9], s[36:37]
	s_branch .LBB24_48
.LBB24_47:                              ;   in Loop: Header=BB24_48 Depth=1
	v_mov_b32_e32 v2, s10
	s_add_co_i32 s15, s15, 1
	s_add_co_i32 s16, s16, 1
	s_add_nc_u64 s[6:7], s[6:7], 4
	s_add_nc_u64 s[8:9], s[8:9], 8
	s_cmp_lg_u32 s15, s24
	s_clause 0x1
	global_store_b64 v2, v[0:1], s[36:37] scale_offset
	global_store_b32 v2, v5, s[40:41] scale_offset
	s_cbranch_scc0 .LBB24_57
.LBB24_48:                              ; =>This Loop Header: Depth=1
                                        ;     Child Loop BB24_49 Depth 2
	s_wait_xcnt 0x0
	v_mov_b32_e32 v2, s15
	s_mov_b64 s[10:11], s[8:9]
	s_mov_b64 s[12:13], s[6:7]
	s_mov_b32 s17, s16
	s_clause 0x1
	global_load_b64 v[0:1], v2, s[36:37] scale_offset
	global_load_b32 v5, v2, s[40:41] scale_offset
.LBB24_49:                              ;   Parent Loop BB24_48 Depth=1
                                        ; =>  This Inner Loop Header: Depth=2
	global_load_b64 v[2:3], v4, s[10:11]
	s_mov_b32 s19, -1
	s_mov_b32 s20, -1
                                        ; implicit-def: $sgpr18
	s_wait_loadcnt 0x0
	v_cmp_nlt_f64_e32 vcc_lo, v[2:3], v[0:1]
	s_cbranch_vccnz .LBB24_51
; %bb.50:                               ;   in Loop: Header=BB24_49 Depth=2
	global_load_b32 v6, v4, s[12:13] offset:-1204
	s_add_co_i32 s18, s17, 0xfffffed3
	s_add_nc_u64 s[30:31], s[12:13], s[2:3]
	s_cmp_lt_i32 s18, 0x25a
	global_store_b64 v4, v[2:3], s[10:11] offset:2408
	s_wait_xcnt 0x0
	s_add_nc_u64 s[10:11], s[10:11], s[4:5]
	s_mov_b32 s19, 0
	s_cselect_b32 s20, -1, 0
	s_wait_loadcnt 0x0
	global_store_b32 v4, v6, s[12:13]
	s_wait_xcnt 0x0
	s_mov_b64 s[12:13], s[30:31]
.LBB24_51:                              ;   in Loop: Header=BB24_49 Depth=2
	s_and_not1_b32 vcc_lo, exec_lo, s20
	s_cbranch_vccz .LBB24_53
; %bb.52:                               ;   in Loop: Header=BB24_49 Depth=2
	s_mov_b32 s17, s18
	s_branch .LBB24_49
.LBB24_53:                              ;   in Loop: Header=BB24_48 Depth=1
	s_and_not1_b32 vcc_lo, exec_lo, s19
	s_wait_xcnt 0x0
	s_mov_b32 s11, -1
                                        ; implicit-def: $sgpr10
	s_cbranch_vccz .LBB24_55
; %bb.54:                               ;   in Loop: Header=BB24_48 Depth=1
	s_add_co_i32 s10, s18, 0xfffffed3
	s_mov_b32 s11, 0
.LBB24_55:                              ;   in Loop: Header=BB24_48 Depth=1
	s_delay_alu instid0(SALU_CYCLE_1)
	s_and_not1_b32 vcc_lo, exec_lo, s11
	s_cbranch_vccnz .LBB24_47
; %bb.56:                               ;   in Loop: Header=BB24_48 Depth=1
	s_add_co_i32 s10, s17, 0xfffffed3
	s_branch .LBB24_47
.LBB24_57:
	s_cmp_lt_i32 s24, 0x85
	s_cbranch_scc1 .LBB24_69
; %bb.58:
	v_mov_b32_e32 v4, 0
	s_mov_b64 s[2:3], 0xfffffffffffffdf0
	s_mov_b64 s[4:5], 0xfffffffffffffbe0
	s_add_nc_u64 s[6:7], s[40:41], 0x210
	s_movk_i32 s15, 0x84
	s_movk_i32 s16, 0x108
	s_mov_b64 s[8:9], s[36:37]
	s_branch .LBB24_60
.LBB24_59:                              ;   in Loop: Header=BB24_60 Depth=1
	v_mov_b32_e32 v2, s10
	s_add_co_i32 s15, s15, 1
	s_add_co_i32 s16, s16, 1
	s_add_nc_u64 s[6:7], s[6:7], 4
	s_add_nc_u64 s[8:9], s[8:9], 8
	s_cmp_lg_u32 s15, s24
	s_clause 0x1
	global_store_b64 v2, v[0:1], s[36:37] scale_offset
	global_store_b32 v2, v5, s[40:41] scale_offset
	s_cbranch_scc0 .LBB24_69
.LBB24_60:                              ; =>This Loop Header: Depth=1
                                        ;     Child Loop BB24_61 Depth 2
	s_wait_xcnt 0x0
	v_mov_b32_e32 v2, s15
	s_mov_b64 s[10:11], s[8:9]
	s_mov_b64 s[12:13], s[6:7]
	s_mov_b32 s17, s16
	s_clause 0x1
	global_load_b64 v[0:1], v2, s[36:37] scale_offset
	global_load_b32 v5, v2, s[40:41] scale_offset
.LBB24_61:                              ;   Parent Loop BB24_60 Depth=1
                                        ; =>  This Inner Loop Header: Depth=2
	global_load_b64 v[2:3], v4, s[10:11]
	s_mov_b32 s19, -1
	s_mov_b32 s20, -1
                                        ; implicit-def: $sgpr18
	s_wait_loadcnt 0x0
	v_cmp_nlt_f64_e32 vcc_lo, v[2:3], v[0:1]
	s_cbranch_vccnz .LBB24_63
; %bb.62:                               ;   in Loop: Header=BB24_61 Depth=2
	global_load_b32 v6, v4, s[12:13] offset:-528
	s_add_co_i32 s18, s17, 0xffffff7c
	s_add_nc_u64 s[30:31], s[12:13], s[2:3]
	s_cmp_lt_i32 s18, 0x108
	global_store_b64 v4, v[2:3], s[10:11] offset:1056
	s_wait_xcnt 0x0
	s_add_nc_u64 s[10:11], s[10:11], s[4:5]
	s_mov_b32 s19, 0
	s_cselect_b32 s20, -1, 0
	s_wait_loadcnt 0x0
	global_store_b32 v4, v6, s[12:13]
	s_wait_xcnt 0x0
	s_mov_b64 s[12:13], s[30:31]
.LBB24_63:                              ;   in Loop: Header=BB24_61 Depth=2
	s_and_not1_b32 vcc_lo, exec_lo, s20
	s_cbranch_vccz .LBB24_65
; %bb.64:                               ;   in Loop: Header=BB24_61 Depth=2
	s_mov_b32 s17, s18
	s_branch .LBB24_61
.LBB24_65:                              ;   in Loop: Header=BB24_60 Depth=1
	s_and_not1_b32 vcc_lo, exec_lo, s19
	s_wait_xcnt 0x0
	s_mov_b32 s11, -1
                                        ; implicit-def: $sgpr10
	s_cbranch_vccz .LBB24_67
; %bb.66:                               ;   in Loop: Header=BB24_60 Depth=1
	s_add_co_i32 s10, s18, 0xffffff7c
	s_mov_b32 s11, 0
.LBB24_67:                              ;   in Loop: Header=BB24_60 Depth=1
	s_delay_alu instid0(SALU_CYCLE_1)
	s_and_not1_b32 vcc_lo, exec_lo, s11
	s_cbranch_vccnz .LBB24_59
; %bb.68:                               ;   in Loop: Header=BB24_60 Depth=1
	s_add_co_i32 s10, s17, 0xffffff7c
	s_branch .LBB24_59
.LBB24_69:
	s_cmp_lt_i32 s24, 58
	s_cbranch_scc1 .LBB24_81
; %bb.70:
	v_mov_b32_e32 v4, 0
	s_mov_b64 s[2:3], 0xffffffffffffff1c
	s_mov_b64 s[4:5], 0xfffffffffffffe38
	s_add_nc_u64 s[6:7], s[40:41], 0xe4
	s_mov_b32 s15, 57
	s_movk_i32 s16, 0x72
	s_mov_b64 s[8:9], s[36:37]
	s_branch .LBB24_72
.LBB24_71:                              ;   in Loop: Header=BB24_72 Depth=1
	v_mov_b32_e32 v2, s10
	s_add_co_i32 s15, s15, 1
	s_add_co_i32 s16, s16, 1
	s_add_nc_u64 s[6:7], s[6:7], 4
	s_add_nc_u64 s[8:9], s[8:9], 8
	s_cmp_lg_u32 s15, s24
	s_clause 0x1
	global_store_b64 v2, v[0:1], s[36:37] scale_offset
	global_store_b32 v2, v5, s[40:41] scale_offset
	s_cbranch_scc0 .LBB24_81
.LBB24_72:                              ; =>This Loop Header: Depth=1
                                        ;     Child Loop BB24_73 Depth 2
	s_wait_xcnt 0x0
	v_mov_b32_e32 v2, s15
	s_mov_b64 s[10:11], s[8:9]
	s_mov_b64 s[12:13], s[6:7]
	s_mov_b32 s17, s16
	s_clause 0x1
	global_load_b64 v[0:1], v2, s[36:37] scale_offset
	global_load_b32 v5, v2, s[40:41] scale_offset
.LBB24_73:                              ;   Parent Loop BB24_72 Depth=1
                                        ; =>  This Inner Loop Header: Depth=2
	global_load_b64 v[2:3], v4, s[10:11]
	s_mov_b32 s19, -1
	s_mov_b32 s20, -1
                                        ; implicit-def: $sgpr18
	s_wait_loadcnt 0x0
	v_cmp_nlt_f64_e32 vcc_lo, v[2:3], v[0:1]
	s_cbranch_vccnz .LBB24_75
; %bb.74:                               ;   in Loop: Header=BB24_73 Depth=2
	global_load_b32 v6, v4, s[12:13] offset:-228
	s_sub_co_i32 s18, s17, 57
	s_add_nc_u64 s[30:31], s[12:13], s[2:3]
	s_cmp_lt_i32 s18, 0x72
	global_store_b64 v4, v[2:3], s[10:11] offset:456
	s_wait_xcnt 0x0
	s_add_nc_u64 s[10:11], s[10:11], s[4:5]
	s_mov_b32 s19, 0
	s_cselect_b32 s20, -1, 0
	s_wait_loadcnt 0x0
	global_store_b32 v4, v6, s[12:13]
	s_wait_xcnt 0x0
	s_mov_b64 s[12:13], s[30:31]
.LBB24_75:                              ;   in Loop: Header=BB24_73 Depth=2
	s_and_not1_b32 vcc_lo, exec_lo, s20
	s_cbranch_vccz .LBB24_77
; %bb.76:                               ;   in Loop: Header=BB24_73 Depth=2
	s_mov_b32 s17, s18
	s_branch .LBB24_73
.LBB24_77:                              ;   in Loop: Header=BB24_72 Depth=1
	s_and_not1_b32 vcc_lo, exec_lo, s19
	s_wait_xcnt 0x0
	s_mov_b32 s11, -1
                                        ; implicit-def: $sgpr10
	s_cbranch_vccz .LBB24_79
; %bb.78:                               ;   in Loop: Header=BB24_72 Depth=1
	s_sub_co_i32 s10, s18, 57
	s_mov_b32 s11, 0
.LBB24_79:                              ;   in Loop: Header=BB24_72 Depth=1
	s_delay_alu instid0(SALU_CYCLE_1)
	s_and_not1_b32 vcc_lo, exec_lo, s11
	s_cbranch_vccnz .LBB24_71
; %bb.80:                               ;   in Loop: Header=BB24_72 Depth=1
	s_sub_co_i32 s10, s17, 57
	s_branch .LBB24_71
.LBB24_81:
	s_cmp_lt_i32 s24, 24
	s_cbranch_scc1 .LBB24_93
; %bb.82:
	v_mov_b32_e32 v4, 0
	s_mov_b64 s[2:3], 0xffffffffffffffa4
	s_mov_b64 s[4:5], 0xffffffffffffff48
	s_add_nc_u64 s[6:7], s[40:41], 0x5c
	s_mov_b32 s15, 23
	s_mov_b32 s16, 46
	s_mov_b64 s[8:9], s[36:37]
	s_branch .LBB24_84
.LBB24_83:                              ;   in Loop: Header=BB24_84 Depth=1
	v_mov_b32_e32 v2, s10
	s_add_co_i32 s15, s15, 1
	s_add_co_i32 s16, s16, 1
	s_add_nc_u64 s[6:7], s[6:7], 4
	s_add_nc_u64 s[8:9], s[8:9], 8
	s_cmp_lg_u32 s15, s24
	s_clause 0x1
	global_store_b64 v2, v[0:1], s[36:37] scale_offset
	global_store_b32 v2, v5, s[40:41] scale_offset
	s_cbranch_scc0 .LBB24_93
.LBB24_84:                              ; =>This Loop Header: Depth=1
                                        ;     Child Loop BB24_85 Depth 2
	s_wait_xcnt 0x0
	v_mov_b32_e32 v2, s15
	s_mov_b64 s[10:11], s[8:9]
	s_mov_b64 s[12:13], s[6:7]
	s_mov_b32 s17, s16
	s_clause 0x1
	global_load_b64 v[0:1], v2, s[36:37] scale_offset
	global_load_b32 v5, v2, s[40:41] scale_offset
.LBB24_85:                              ;   Parent Loop BB24_84 Depth=1
                                        ; =>  This Inner Loop Header: Depth=2
	global_load_b64 v[2:3], v4, s[10:11]
	s_mov_b32 s19, -1
	s_mov_b32 s20, -1
                                        ; implicit-def: $sgpr18
	s_wait_loadcnt 0x0
	v_cmp_nlt_f64_e32 vcc_lo, v[2:3], v[0:1]
	s_cbranch_vccnz .LBB24_87
; %bb.86:                               ;   in Loop: Header=BB24_85 Depth=2
	global_load_b32 v6, v4, s[12:13] offset:-92
	s_sub_co_i32 s18, s17, 23
	s_add_nc_u64 s[30:31], s[12:13], s[2:3]
	s_cmp_lt_i32 s18, 46
	global_store_b64 v4, v[2:3], s[10:11] offset:184
	s_wait_xcnt 0x0
	s_add_nc_u64 s[10:11], s[10:11], s[4:5]
	s_mov_b32 s19, 0
	s_cselect_b32 s20, -1, 0
	s_wait_loadcnt 0x0
	global_store_b32 v4, v6, s[12:13]
	s_wait_xcnt 0x0
	s_mov_b64 s[12:13], s[30:31]
.LBB24_87:                              ;   in Loop: Header=BB24_85 Depth=2
	s_and_not1_b32 vcc_lo, exec_lo, s20
	s_cbranch_vccz .LBB24_89
; %bb.88:                               ;   in Loop: Header=BB24_85 Depth=2
	s_mov_b32 s17, s18
	s_branch .LBB24_85
.LBB24_89:                              ;   in Loop: Header=BB24_84 Depth=1
	s_and_not1_b32 vcc_lo, exec_lo, s19
	s_wait_xcnt 0x0
	s_mov_b32 s11, -1
                                        ; implicit-def: $sgpr10
	s_cbranch_vccz .LBB24_91
; %bb.90:                               ;   in Loop: Header=BB24_84 Depth=1
	s_sub_co_i32 s10, s18, 23
	s_mov_b32 s11, 0
.LBB24_91:                              ;   in Loop: Header=BB24_84 Depth=1
	s_delay_alu instid0(SALU_CYCLE_1)
	s_and_not1_b32 vcc_lo, exec_lo, s11
	s_cbranch_vccnz .LBB24_83
; %bb.92:                               ;   in Loop: Header=BB24_84 Depth=1
	s_sub_co_i32 s10, s17, 23
	s_branch .LBB24_83
.LBB24_93:
	s_cmp_lt_i32 s24, 11
	s_cbranch_scc1 .LBB24_105
; %bb.94:
	v_mov_b32_e32 v4, 0
	s_mov_b64 s[2:3], 0xffffffffffffffd8
	s_mov_b64 s[4:5], 0xffffffffffffffb0
	s_add_nc_u64 s[6:7], s[40:41], 40
	s_mov_b32 s15, 10
	s_mov_b32 s16, 20
	s_mov_b64 s[8:9], s[36:37]
	s_branch .LBB24_96
.LBB24_95:                              ;   in Loop: Header=BB24_96 Depth=1
	v_mov_b32_e32 v2, s10
	s_add_co_i32 s15, s15, 1
	s_add_co_i32 s16, s16, 1
	s_add_nc_u64 s[6:7], s[6:7], 4
	s_add_nc_u64 s[8:9], s[8:9], 8
	s_cmp_lg_u32 s15, s24
	s_clause 0x1
	global_store_b64 v2, v[0:1], s[36:37] scale_offset
	global_store_b32 v2, v5, s[40:41] scale_offset
	s_cbranch_scc0 .LBB24_105
.LBB24_96:                              ; =>This Loop Header: Depth=1
                                        ;     Child Loop BB24_97 Depth 2
	s_wait_xcnt 0x0
	v_mov_b32_e32 v2, s15
	s_mov_b64 s[10:11], s[8:9]
	s_mov_b64 s[12:13], s[6:7]
	s_mov_b32 s17, s16
	s_clause 0x1
	global_load_b64 v[0:1], v2, s[36:37] scale_offset
	global_load_b32 v5, v2, s[40:41] scale_offset
.LBB24_97:                              ;   Parent Loop BB24_96 Depth=1
                                        ; =>  This Inner Loop Header: Depth=2
	global_load_b64 v[2:3], v4, s[10:11]
	s_mov_b32 s19, -1
	s_mov_b32 s20, -1
                                        ; implicit-def: $sgpr18
	s_wait_loadcnt 0x0
	v_cmp_nlt_f64_e32 vcc_lo, v[2:3], v[0:1]
	s_cbranch_vccnz .LBB24_99
; %bb.98:                               ;   in Loop: Header=BB24_97 Depth=2
	global_load_b32 v6, v4, s[12:13] offset:-40
	s_add_co_i32 s18, s17, -10
	s_add_nc_u64 s[30:31], s[12:13], s[2:3]
	s_cmp_lt_i32 s18, 20
	global_store_b64 v4, v[2:3], s[10:11] offset:80
	s_wait_xcnt 0x0
	s_add_nc_u64 s[10:11], s[10:11], s[4:5]
	s_mov_b32 s19, 0
	s_cselect_b32 s20, -1, 0
	s_wait_loadcnt 0x0
	global_store_b32 v4, v6, s[12:13]
	s_wait_xcnt 0x0
	s_mov_b64 s[12:13], s[30:31]
.LBB24_99:                              ;   in Loop: Header=BB24_97 Depth=2
	s_and_not1_b32 vcc_lo, exec_lo, s20
	s_cbranch_vccz .LBB24_101
; %bb.100:                              ;   in Loop: Header=BB24_97 Depth=2
	s_mov_b32 s17, s18
	s_branch .LBB24_97
.LBB24_101:                             ;   in Loop: Header=BB24_96 Depth=1
	s_and_not1_b32 vcc_lo, exec_lo, s19
	s_wait_xcnt 0x0
	s_mov_b32 s11, -1
                                        ; implicit-def: $sgpr10
	s_cbranch_vccz .LBB24_103
; %bb.102:                              ;   in Loop: Header=BB24_96 Depth=1
	s_add_co_i32 s10, s18, -10
	s_mov_b32 s11, 0
.LBB24_103:                             ;   in Loop: Header=BB24_96 Depth=1
	s_delay_alu instid0(SALU_CYCLE_1)
	s_and_not1_b32 vcc_lo, exec_lo, s11
	s_cbranch_vccnz .LBB24_95
; %bb.104:                              ;   in Loop: Header=BB24_96 Depth=1
	s_add_co_i32 s10, s17, -10
	s_branch .LBB24_95
.LBB24_105:
	s_cmp_lt_i32 s24, 5
	s_cbranch_scc1 .LBB24_117
; %bb.106:
	v_mov_b32_e32 v4, 0
	s_add_nc_u64 s[6:7], s[52:53], s[50:51]
	s_add_nc_u64 s[2:3], s[40:41], 16
	s_mov_b64 s[4:5], 0xffffffffffffffe0
	s_add_nc_u64 s[6:7], s[6:7], 32
	s_mov_b32 s12, 4
	s_mov_b32 s13, 8
	s_branch .LBB24_108
.LBB24_107:                             ;   in Loop: Header=BB24_108 Depth=1
	v_mov_b32_e32 v2, s8
	s_add_co_i32 s12, s12, 1
	s_add_co_i32 s13, s13, 1
	s_add_nc_u64 s[2:3], s[2:3], 4
	s_add_nc_u64 s[6:7], s[6:7], 8
	s_cmp_lg_u32 s12, s24
	s_clause 0x1
	global_store_b64 v2, v[0:1], s[36:37] scale_offset
	global_store_b32 v2, v5, s[40:41] scale_offset
	s_cbranch_scc0 .LBB24_117
.LBB24_108:                             ; =>This Loop Header: Depth=1
                                        ;     Child Loop BB24_109 Depth 2
	s_wait_xcnt 0x0
	v_mov_b32_e32 v2, s12
	s_mov_b64 s[8:9], s[6:7]
	s_mov_b64 s[10:11], s[2:3]
	s_mov_b32 s15, s13
	s_clause 0x1
	global_load_b64 v[0:1], v2, s[36:37] scale_offset
	global_load_b32 v5, v2, s[40:41] scale_offset
.LBB24_109:                             ;   Parent Loop BB24_108 Depth=1
                                        ; =>  This Inner Loop Header: Depth=2
	global_load_b64 v[2:3], v4, s[8:9] offset:-32
	s_mov_b32 s17, -1
	s_mov_b32 s18, -1
                                        ; implicit-def: $sgpr16
	s_wait_loadcnt 0x0
	v_cmp_nlt_f64_e32 vcc_lo, v[2:3], v[0:1]
	s_cbranch_vccnz .LBB24_111
; %bb.110:                              ;   in Loop: Header=BB24_109 Depth=2
	global_load_b32 v6, v4, s[10:11] offset:-16
	s_add_co_i32 s16, s15, -4
	s_add_nc_u64 s[30:31], s[10:11], -16
	s_cmp_lt_i32 s16, 8
	s_mov_b32 s17, 0
	s_cselect_b32 s18, -1, 0
	global_store_b64 v4, v[2:3], s[8:9]
	s_wait_loadcnt 0x0
	global_store_b32 v4, v6, s[10:11]
	s_wait_xcnt 0x0
	s_mov_b64 s[10:11], s[30:31]
.LBB24_111:                             ;   in Loop: Header=BB24_109 Depth=2
	s_and_not1_b32 vcc_lo, exec_lo, s18
	s_wait_xcnt 0x0
	s_add_nc_u64 s[8:9], s[8:9], s[4:5]
	s_cbranch_vccz .LBB24_113
; %bb.112:                              ;   in Loop: Header=BB24_109 Depth=2
	s_mov_b32 s15, s16
	s_branch .LBB24_109
.LBB24_113:                             ;   in Loop: Header=BB24_108 Depth=1
	s_and_not1_b32 vcc_lo, exec_lo, s17
	s_mov_b32 s9, -1
                                        ; implicit-def: $sgpr8
	s_cbranch_vccz .LBB24_115
; %bb.114:                              ;   in Loop: Header=BB24_108 Depth=1
	s_add_co_i32 s8, s16, -4
	s_mov_b32 s9, 0
.LBB24_115:                             ;   in Loop: Header=BB24_108 Depth=1
	s_delay_alu instid0(SALU_CYCLE_1)
	s_and_not1_b32 vcc_lo, exec_lo, s9
	s_cbranch_vccnz .LBB24_107
; %bb.116:                              ;   in Loop: Header=BB24_108 Depth=1
	s_add_co_i32 s8, s15, -4
	s_branch .LBB24_107
.LBB24_117:
	s_cmp_lt_i32 s24, 2
	s_mov_b32 s10, 2
	s_cbranch_scc1 .LBB24_126
; %bb.118:
	v_mov_b32_e32 v4, 0
	s_add_nc_u64 s[4:5], s[52:53], s[50:51]
	s_add_nc_u64 s[2:3], s[40:41], 4
	;; [unrolled: 1-line block ×3, first 2 shown]
	s_mov_b32 s11, 1
	s_branch .LBB24_120
.LBB24_119:                             ;   in Loop: Header=BB24_120 Depth=1
	v_mov_b32_e32 v2, s6
	s_add_co_i32 s11, s11, 1
	s_add_co_i32 s10, s10, 1
	s_add_nc_u64 s[2:3], s[2:3], 4
	s_add_nc_u64 s[4:5], s[4:5], 8
	s_cmp_eq_u32 s11, s24
	s_clause 0x1
	global_store_b64 v2, v[0:1], s[36:37] scale_offset
	global_store_b32 v2, v5, s[40:41] scale_offset
	s_cbranch_scc1 .LBB24_126
.LBB24_120:                             ; =>This Loop Header: Depth=1
                                        ;     Child Loop BB24_122 Depth 2
	s_wait_xcnt 0x0
	v_mov_b32_e32 v2, s11
	s_mov_b64 s[6:7], s[4:5]
	s_mov_b64 s[8:9], s[2:3]
	s_mov_b32 s13, s10
	s_clause 0x1
	global_load_b64 v[0:1], v2, s[36:37] scale_offset
	global_load_b32 v5, v2, s[40:41] scale_offset
	s_branch .LBB24_122
.LBB24_121:                             ;   in Loop: Header=BB24_122 Depth=2
	s_and_not1_b32 vcc_lo, exec_lo, s16
	s_wait_xcnt 0x0
	s_add_nc_u64 s[6:7], s[6:7], -8
	s_cbranch_vccz .LBB24_124
.LBB24_122:                             ;   Parent Loop BB24_120 Depth=1
                                        ; =>  This Inner Loop Header: Depth=2
	global_load_b64 v[2:3], v4, s[6:7] offset:-8
	s_mov_b32 s12, s13
	s_mov_b32 s15, -1
	s_mov_b32 s16, -1
                                        ; implicit-def: $sgpr13
	s_wait_loadcnt 0x0
	v_cmp_nlt_f64_e32 vcc_lo, v[2:3], v[0:1]
	s_cbranch_vccnz .LBB24_121
; %bb.123:                              ;   in Loop: Header=BB24_122 Depth=2
	global_load_b32 v6, v4, s[8:9] offset:-4
	s_add_co_i32 s13, s12, -1
	s_add_nc_u64 s[18:19], s[8:9], -4
	s_cmp_lt_i32 s13, 2
	s_mov_b32 s15, 0
	s_cselect_b32 s16, -1, 0
	global_store_b64 v4, v[2:3], s[6:7]
	s_wait_loadcnt 0x0
	global_store_b32 v4, v6, s[8:9]
	s_wait_xcnt 0x0
	s_mov_b64 s[8:9], s[18:19]
	s_branch .LBB24_121
.LBB24_124:                             ;   in Loop: Header=BB24_120 Depth=1
	s_and_b32 vcc_lo, exec_lo, s15
	s_mov_b32 s6, 0
	s_cbranch_vccz .LBB24_119
; %bb.125:                              ;   in Loop: Header=BB24_120 Depth=1
	s_add_co_i32 s6, s12, -1
	s_branch .LBB24_119
.LBB24_126:
	s_wait_xcnt 0x0
	s_or_b32 exec_lo, exec_lo, s14
	s_cmp_lt_i32 s24, 2
	s_mov_b32 s58, 0
	s_cselect_b32 s5, -1, 0
	s_wait_storecnt 0x0
	s_and_b32 vcc_lo, exec_lo, s5
	s_barrier_signal -1
	s_barrier_wait -1
	s_cbranch_vccnz .LBB24_134
; %bb.127:
	s_add_co_i32 s4, s24, -1
	s_mov_b32 s5, -1
	s_mov_b32 s2, 0
	s_mov_b32 s3, exec_lo
	v_cmpx_gt_u32_e64 s4, v41
	s_cbranch_execz .LBB24_136
; %bb.128:
	v_dual_mov_b32 v1, 0 :: v_dual_mov_b32 v0, v41
	s_mov_b32 s5, 0
                                        ; implicit-def: $sgpr6
	s_branch .LBB24_130
.LBB24_129:                             ;   in Loop: Header=BB24_130 Depth=1
	s_or_b32 exec_lo, exec_lo, s9
	s_xor_b32 s7, s8, -1
	s_and_b32 s2, exec_lo, s2
	s_delay_alu instid0(SALU_CYCLE_1) | instskip(SKIP_2) | instid1(SALU_CYCLE_1)
	s_or_b32 s5, s2, s5
	s_and_not1_b32 s2, s6, exec_lo
	s_and_b32 s6, s7, exec_lo
	s_or_b32 s6, s2, s6
	s_and_not1_b32 exec_lo, exec_lo, s5
	s_cbranch_execz .LBB24_135
.LBB24_130:                             ; =>This Inner Loop Header: Depth=1
	global_load_b64 v[2:3], v0, s[36:37] scale_offset
	s_mov_b32 s8, exec_lo
	s_wait_loadcnt 0x0
	v_cmp_u_f64_e64 s7, v[2:3], v[2:3]
	v_cmpx_o_f64_e32 v[2:3], v[2:3]
	s_cbranch_execz .LBB24_132
; %bb.131:                              ;   in Loop: Header=BB24_130 Depth=1
	v_lshl_add_u64 v[4:5], v[0:1], 3, s[36:37]
	s_and_not1_b32 s7, s7, exec_lo
	global_load_b64 v[4:5], v[4:5], off offset:8
	s_wait_loadcnt 0x0
	v_cmp_u_f64_e32 vcc_lo, v[4:5], v[4:5]
	v_cmp_ge_f64_e64 s2, v[2:3], v[4:5]
	s_or_b32 s2, vcc_lo, s2
	s_delay_alu instid0(SALU_CYCLE_1) | instskip(NEXT) | instid1(SALU_CYCLE_1)
	s_and_b32 s2, s2, exec_lo
	s_or_b32 s7, s7, s2
.LBB24_132:                             ;   in Loop: Header=BB24_130 Depth=1
	s_or_b32 exec_lo, exec_lo, s8
	s_mov_b32 s2, -1
	s_mov_b32 s8, -1
	s_and_saveexec_b32 s9, s7
	s_cbranch_execz .LBB24_129
; %bb.133:                              ;   in Loop: Header=BB24_130 Depth=1
	v_add_nc_u32_e32 v0, s46, v0
	s_xor_b32 s8, exec_lo, -1
	s_delay_alu instid0(VALU_DEP_1)
	v_cmp_le_u32_e32 vcc_lo, s4, v0
	s_or_not1_b32 s2, vcc_lo, exec_lo
	s_branch .LBB24_129
.LBB24_134:
	s_mov_b32 s2, 0
	s_branch .LBB24_137
.LBB24_135:
	s_or_b32 exec_lo, exec_lo, s5
	s_delay_alu instid0(SALU_CYCLE_1)
	s_mov_b32 s2, exec_lo
	s_or_not1_b32 s5, s6, exec_lo
.LBB24_136:
	s_or_b32 exec_lo, exec_lo, s3
.LBB24_137:
	s_and_saveexec_b32 s3, s5
	s_cbranch_execz .LBB24_139
; %bb.138:
	s_mov_b32 s58, exec_lo
	s_barrier_signal -1
	s_barrier_wait -1
	s_and_not1_b32 s2, s2, exec_lo
.LBB24_139:
	s_or_b32 exec_lo, exec_lo, s3
	s_mov_b32 s54, 0
	s_and_saveexec_b32 s59, s2
	s_cbranch_execz .LBB24_141
; %bb.140:
	s_get_pc_i64 s[2:3]
	s_add_nc_u64 s[2:3], s[2:3], __PRETTY_FUNCTION__._ZN9rocsolver6v33100L21shell_sort_descendingIdiEEvT0_PT_PS2_@rel64+4
	s_add_nc_u64 s[8:9], s[0:1], 0x90
	v_dual_mov_b32 v0, s2 :: v_dual_mov_b32 v1, s3
	s_get_pc_i64 s[4:5]
	s_add_nc_u64 s[4:5], s[4:5], __assert_fail@rel64+4
	s_mov_b64 s[54:55], s[0:1]
	s_swap_pc_i64 s[30:31], s[4:5]
	s_mov_b64 s[0:1], s[54:55]
	s_mov_b32 s54, exec_lo
.LBB24_141:
	s_or_b32 exec_lo, exec_lo, s59
.LBB24_142:
	s_wait_xcnt 0x0
	s_and_saveexec_b32 s20, s58
	s_cbranch_execz .LBB24_167
; %bb.143:
	s_and_not1_b32 vcc_lo, exec_lo, s57
	s_wait_storecnt 0x0
	s_barrier_signal -1
	s_barrier_wait -1
	s_cbranch_vccnz .LBB24_166
; %bb.144:
	s_cmp_gt_i32 s25, 0
	v_cmp_eq_u32_e64 s2, 0, v41
	s_cselect_b32 s30, -1, 0
	s_ashr_i32 s9, s47, 31
	s_cmp_gt_i32 s26, 0
	v_cmp_gt_u32_e64 s3, s25, v41
	s_cselect_b32 s31, -1, 0
	v_cmp_gt_u32_e64 s4, s26, v41
	s_ashr_i32 s11, s43, 31
	v_cmp_gt_u32_e64 s5, s27, v41
	v_mov_b32_e32 v1, 0
	s_mov_b32 s7, 0
	s_cmp_gt_i32 s27, 0
	s_mov_b32 s8, s47
	s_mov_b32 s10, s43
	s_cselect_b32 s33, -1, 0
	s_ashr_i32 s13, s49, 31
	s_mov_b32 s12, s49
	s_mov_b32 s6, s7
	s_branch .LBB24_146
.LBB24_145:                             ;   in Loop: Header=BB24_146 Depth=1
	s_add_co_i32 s6, s6, 1
	s_delay_alu instid0(SALU_CYCLE_1)
	s_cmp_eq_u32 s6, s24
	s_cbranch_scc1 .LBB24_166
.LBB24_146:                             ; =>This Loop Header: Depth=1
                                        ;     Child Loop BB24_150 Depth 2
                                        ;       Child Loop BB24_155 Depth 3
                                        ;       Child Loop BB24_160 Depth 3
	;; [unrolled: 1-line block ×3, first 2 shown]
	v_mov_b32_e32 v0, s6
	global_load_b32 v2, v0, s[40:41] scale_offset
	s_wait_loadcnt 0x0
	v_cmp_eq_u32_e32 vcc_lo, s6, v2
	s_cbranch_vccnz .LBB24_145
; %bb.147:                              ;   in Loop: Header=BB24_146 Depth=1
	s_lshl_b64 s[14:15], s[6:7], 2
	s_delay_alu instid0(SALU_CYCLE_1)
	s_add_nc_u64 s[14:15], s[40:41], s[14:15]
	s_branch .LBB24_150
.LBB24_148:                             ;   in Loop: Header=BB24_150 Depth=2
	s_or_b32 exec_lo, exec_lo, s18
	s_wait_storecnt 0x0
	s_barrier_signal -1
	s_barrier_wait -1
.LBB24_149:                             ;   in Loop: Header=BB24_150 Depth=2
	global_load_b32 v2, v1, s[14:15]
	s_wait_loadcnt 0x0
	v_cmp_ne_u32_e32 vcc_lo, s6, v2
	s_cbranch_vccz .LBB24_145
.LBB24_150:                             ;   Parent Loop BB24_146 Depth=1
                                        ; =>  This Loop Header: Depth=2
                                        ;       Child Loop BB24_155 Depth 3
                                        ;       Child Loop BB24_160 Depth 3
	;; [unrolled: 1-line block ×3, first 2 shown]
	global_load_b32 v0, v2, s[40:41] scale_offset
	v_ashrrev_i32_e32 v3, 31, v2
	s_wait_loadcnt 0x0
	s_barrier_signal -1
	s_barrier_wait -1
	v_readfirstlane_b32 s16, v0
	s_wait_xcnt 0x0
	s_and_saveexec_b32 s17, s2
	s_cbranch_execz .LBB24_152
; %bb.151:                              ;   in Loop: Header=BB24_150 Depth=2
	v_lshlrev_b64_e32 v[4:5], 2, v[2:3]
	v_mov_b32_e32 v0, s16
	s_delay_alu instid0(VALU_DEP_2)
	v_add_nc_u64_e32 v[4:5], s[40:41], v[4:5]
	s_clause 0x1
	global_store_b32 v[4:5], v2, off
	global_store_b32 v1, v0, s[14:15]
.LBB24_152:                             ;   in Loop: Header=BB24_150 Depth=2
	s_wait_xcnt 0x0
	s_or_b32 exec_lo, exec_lo, s17
	s_delay_alu instid0(SALU_CYCLE_1)
	s_and_not1_b32 vcc_lo, exec_lo, s30
	s_wait_storecnt 0x0
	s_barrier_signal -1
	s_barrier_wait -1
	s_cbranch_vccnz .LBB24_157
; %bb.153:                              ;   in Loop: Header=BB24_150 Depth=2
	s_and_saveexec_b32 s18, s3
	s_cbranch_execz .LBB24_156
; %bb.154:                              ;   in Loop: Header=BB24_150 Depth=2
	v_mov_b32_e32 v0, v41
	s_ashr_i32 s17, s16, 31
	s_mov_b32 s19, 0
.LBB24_155:                             ;   Parent Loop BB24_146 Depth=1
                                        ;     Parent Loop BB24_150 Depth=2
                                        ; =>    This Inner Loop Header: Depth=3
	s_delay_alu instid0(VALU_DEP_1) | instskip(SKIP_1) | instid1(VALU_DEP_1)
	v_mul_u64_e32 v[4:5], s[8:9], v[0:1]
	v_add_nc_u32_e32 v0, s46, v0
	v_cmp_le_u32_e32 vcc_lo, s25, v0
	s_or_b32 s19, vcc_lo, s19
	s_delay_alu instid0(VALU_DEP_3) | instskip(NEXT) | instid1(VALU_DEP_1)
	v_lshl_add_u64 v[4:5], v[4:5], 3, s[34:35]
	v_lshl_add_u64 v[6:7], s[16:17], 3, v[4:5]
	;; [unrolled: 1-line block ×3, first 2 shown]
	s_clause 0x1
	global_load_b64 v[8:9], v[6:7], off
	global_load_b64 v[10:11], v[4:5], off
	s_wait_loadcnt 0x1
	global_store_b64 v[4:5], v[8:9], off
	s_wait_loadcnt 0x0
	global_store_b64 v[6:7], v[10:11], off
	s_wait_xcnt 0x0
	s_and_not1_b32 exec_lo, exec_lo, s19
	s_cbranch_execnz .LBB24_155
.LBB24_156:                             ;   in Loop: Header=BB24_150 Depth=2
	s_or_b32 exec_lo, exec_lo, s18
	s_wait_storecnt 0x0
	s_barrier_signal -1
	s_barrier_wait -1
.LBB24_157:                             ;   in Loop: Header=BB24_150 Depth=2
	s_and_not1_b32 vcc_lo, exec_lo, s31
	s_cbranch_vccnz .LBB24_162
; %bb.158:                              ;   in Loop: Header=BB24_150 Depth=2
	s_and_saveexec_b32 s55, s4
	s_cbranch_execz .LBB24_161
; %bb.159:                              ;   in Loop: Header=BB24_150 Depth=2
	v_mul_u64_e32 v[4:5], s[10:11], v[2:3]
	s_ashr_i32 s17, s16, 31
	v_mov_b32_e32 v0, v41
	s_mul_u64 s[18:19], s[16:17], s[10:11]
	s_mov_b32 s17, 0
	s_lshl_b64 s[18:19], s[18:19], 3
	s_delay_alu instid0(SALU_CYCLE_1) | instskip(NEXT) | instid1(VALU_DEP_2)
	s_add_nc_u64 s[18:19], s[28:29], s[18:19]
	v_lshlrev_b64_e32 v[4:5], 3, v[4:5]
	s_delay_alu instid0(VALU_DEP_1)
	v_add_nc_u64_e32 v[4:5], s[28:29], v[4:5]
.LBB24_160:                             ;   Parent Loop BB24_146 Depth=1
                                        ;     Parent Loop BB24_150 Depth=2
                                        ; =>    This Inner Loop Header: Depth=3
	s_delay_alu instid0(VALU_DEP_1) | instskip(NEXT) | instid1(VALU_DEP_2)
	v_readfirstlane_b32 s56, v4
	v_readfirstlane_b32 s57, v5
	s_clause 0x1
	global_load_b64 v[6:7], v0, s[18:19] scale_offset
	global_load_b64 v[8:9], v0, s[56:57] scale_offset
	s_wait_loadcnt 0x1
	global_store_b64 v0, v[6:7], s[56:57] scale_offset
	s_wait_loadcnt 0x0
	global_store_b64 v0, v[8:9], s[18:19] scale_offset
	s_wait_xcnt 0x0
	v_add_nc_u32_e32 v0, s46, v0
	s_delay_alu instid0(VALU_DEP_1) | instskip(SKIP_1) | instid1(SALU_CYCLE_1)
	v_cmp_le_u32_e32 vcc_lo, s26, v0
	s_or_b32 s17, vcc_lo, s17
	s_and_not1_b32 exec_lo, exec_lo, s17
	s_cbranch_execnz .LBB24_160
.LBB24_161:                             ;   in Loop: Header=BB24_150 Depth=2
	s_or_b32 exec_lo, exec_lo, s55
	s_wait_storecnt 0x0
	s_barrier_signal -1
	s_barrier_wait -1
.LBB24_162:                             ;   in Loop: Header=BB24_150 Depth=2
	s_and_not1_b32 vcc_lo, exec_lo, s33
	s_cbranch_vccnz .LBB24_149
; %bb.163:                              ;   in Loop: Header=BB24_150 Depth=2
	s_and_saveexec_b32 s18, s5
	s_cbranch_execz .LBB24_148
; %bb.164:                              ;   in Loop: Header=BB24_150 Depth=2
	v_mov_b32_e32 v0, v41
	s_ashr_i32 s17, s16, 31
	s_mov_b32 s19, 0
.LBB24_165:                             ;   Parent Loop BB24_146 Depth=1
                                        ;     Parent Loop BB24_150 Depth=2
                                        ; =>    This Inner Loop Header: Depth=3
	s_delay_alu instid0(VALU_DEP_1) | instskip(SKIP_1) | instid1(VALU_DEP_1)
	v_mul_u64_e32 v[4:5], s[12:13], v[0:1]
	v_add_nc_u32_e32 v0, s46, v0
	v_cmp_le_u32_e32 vcc_lo, s27, v0
	s_or_b32 s19, vcc_lo, s19
	s_delay_alu instid0(VALU_DEP_3) | instskip(NEXT) | instid1(VALU_DEP_1)
	v_lshl_add_u64 v[4:5], v[4:5], 3, s[44:45]
	v_lshl_add_u64 v[6:7], s[16:17], 3, v[4:5]
	v_lshl_add_u64 v[4:5], v[2:3], 3, v[4:5]
	s_clause 0x1
	global_load_b64 v[8:9], v[6:7], off
	global_load_b64 v[10:11], v[4:5], off
	s_wait_loadcnt 0x1
	global_store_b64 v[4:5], v[8:9], off
	s_wait_loadcnt 0x0
	global_store_b64 v[6:7], v[10:11], off
	s_wait_xcnt 0x0
	s_and_not1_b32 exec_lo, exec_lo, s19
	s_cbranch_execnz .LBB24_165
	s_branch .LBB24_148
.LBB24_166:
	s_mov_b32 s56, exec_lo
.LBB24_167:
	s_or_b32 exec_lo, exec_lo, s20
	s_branch .LBB24_279
.LBB24_168:
	s_and_b32 vcc_lo, exec_lo, s48
	s_mov_b32 s56, -1
	s_cbranch_vccz .LBB24_279
; %bb.169:
	v_or3_b32 v0, v43, v44, v42
	s_mov_b32 s8, exec_lo
	s_wait_storecnt 0x0
	s_barrier_signal -1
	s_barrier_wait -1
	s_barrier_signal -1
	s_barrier_wait -1
	s_wait_xcnt 0x0
	v_cmpx_eq_u32_e32 0, v0
	s_cbranch_execz .LBB24_263
; %bb.170:
	s_cmp_lt_u32 s24, 0x2be
	s_cbranch_scc1 .LBB24_182
; %bb.171:
	v_mov_b32_e32 v4, 0
	s_add_nc_u64 s[4:5], s[52:53], s[50:51]
	s_mov_b64 s[2:3], 0xffffffffffffea18
	s_add_nc_u64 s[4:5], s[4:5], 0x15e8
	s_movk_i32 s9, 0x2bd
	s_movk_i32 s10, 0x57a
	s_branch .LBB24_173
.LBB24_172:                             ;   in Loop: Header=BB24_173 Depth=1
	v_mov_b32_e32 v2, s6
	s_add_co_i32 s9, s9, 1
	s_add_co_i32 s10, s10, 1
	s_cmp_eq_u32 s9, s24
	s_add_nc_u64 s[4:5], s[4:5], 8
	global_store_b64 v2, v[0:1], s[36:37] scale_offset
	s_cbranch_scc1 .LBB24_182
.LBB24_173:                             ; =>This Loop Header: Depth=1
                                        ;     Child Loop BB24_174 Depth 2
	s_wait_xcnt 0x0
	v_mov_b32_e32 v0, s9
	s_mov_b64 s[6:7], s[4:5]
	s_mov_b32 s11, s10
	global_load_b64 v[0:1], v0, s[36:37] scale_offset
.LBB24_174:                             ;   Parent Loop BB24_173 Depth=1
                                        ; =>  This Inner Loop Header: Depth=2
	global_load_b64 v[2:3], v4, s[6:7] offset:-5608
	s_mov_b32 s13, -1
	s_mov_b32 s14, -1
                                        ; implicit-def: $sgpr12
	s_wait_loadcnt 0x0
	v_cmp_nlt_f64_e32 vcc_lo, v[2:3], v[0:1]
	s_cbranch_vccnz .LBB24_176
; %bb.175:                              ;   in Loop: Header=BB24_174 Depth=2
	s_add_co_i32 s12, s11, 0xfffffd43
	s_mov_b32 s13, 0
	s_cmp_lt_i32 s12, 0x57a
	global_store_b64 v4, v[2:3], s[6:7]
	s_cselect_b32 s14, -1, 0
.LBB24_176:                             ;   in Loop: Header=BB24_174 Depth=2
	s_delay_alu instid0(SALU_CYCLE_1)
	s_and_not1_b32 vcc_lo, exec_lo, s14
	s_wait_xcnt 0x0
	s_add_nc_u64 s[6:7], s[6:7], s[2:3]
	s_cbranch_vccz .LBB24_178
; %bb.177:                              ;   in Loop: Header=BB24_174 Depth=2
	s_mov_b32 s11, s12
	s_branch .LBB24_174
.LBB24_178:                             ;   in Loop: Header=BB24_173 Depth=1
	s_and_not1_b32 vcc_lo, exec_lo, s13
	s_mov_b32 s7, -1
                                        ; implicit-def: $sgpr6
	s_cbranch_vccz .LBB24_180
; %bb.179:                              ;   in Loop: Header=BB24_173 Depth=1
	s_add_co_i32 s6, s12, 0xfffffd43
	s_mov_b32 s7, 0
.LBB24_180:                             ;   in Loop: Header=BB24_173 Depth=1
	s_delay_alu instid0(SALU_CYCLE_1)
	s_and_not1_b32 vcc_lo, exec_lo, s7
	s_cbranch_vccnz .LBB24_172
; %bb.181:                              ;   in Loop: Header=BB24_173 Depth=1
	s_add_co_i32 s6, s11, 0xfffffd43
	s_branch .LBB24_172
.LBB24_182:
	s_cmp_lt_i32 s24, 0x12e
	s_cbranch_scc1 .LBB24_194
; %bb.183:
	v_mov_b32_e32 v4, 0
	s_add_nc_u64 s[4:5], s[52:53], s[50:51]
	s_mov_b64 s[2:3], 0xfffffffffffff698
	s_add_nc_u64 s[4:5], s[4:5], 0x968
	s_movk_i32 s9, 0x12d
	s_movk_i32 s10, 0x25a
	s_branch .LBB24_185
.LBB24_184:                             ;   in Loop: Header=BB24_185 Depth=1
	v_mov_b32_e32 v2, s6
	s_add_co_i32 s9, s9, 1
	s_add_co_i32 s10, s10, 1
	s_cmp_lg_u32 s9, s24
	s_add_nc_u64 s[4:5], s[4:5], 8
	global_store_b64 v2, v[0:1], s[36:37] scale_offset
	s_cbranch_scc0 .LBB24_194
.LBB24_185:                             ; =>This Loop Header: Depth=1
                                        ;     Child Loop BB24_186 Depth 2
	s_wait_xcnt 0x0
	v_mov_b32_e32 v0, s9
	s_mov_b64 s[6:7], s[4:5]
	s_mov_b32 s11, s10
	global_load_b64 v[0:1], v0, s[36:37] scale_offset
.LBB24_186:                             ;   Parent Loop BB24_185 Depth=1
                                        ; =>  This Inner Loop Header: Depth=2
	global_load_b64 v[2:3], v4, s[6:7] offset:-2408
	s_mov_b32 s13, -1
	s_mov_b32 s14, -1
                                        ; implicit-def: $sgpr12
	s_wait_loadcnt 0x0
	v_cmp_nlt_f64_e32 vcc_lo, v[2:3], v[0:1]
	s_cbranch_vccnz .LBB24_188
; %bb.187:                              ;   in Loop: Header=BB24_186 Depth=2
	s_add_co_i32 s12, s11, 0xfffffed3
	s_mov_b32 s13, 0
	s_cmp_lt_i32 s12, 0x25a
	global_store_b64 v4, v[2:3], s[6:7]
	s_cselect_b32 s14, -1, 0
.LBB24_188:                             ;   in Loop: Header=BB24_186 Depth=2
	s_delay_alu instid0(SALU_CYCLE_1)
	s_and_not1_b32 vcc_lo, exec_lo, s14
	s_wait_xcnt 0x0
	s_add_nc_u64 s[6:7], s[6:7], s[2:3]
	s_cbranch_vccz .LBB24_190
; %bb.189:                              ;   in Loop: Header=BB24_186 Depth=2
	s_mov_b32 s11, s12
	s_branch .LBB24_186
.LBB24_190:                             ;   in Loop: Header=BB24_185 Depth=1
	s_and_not1_b32 vcc_lo, exec_lo, s13
	s_mov_b32 s7, -1
                                        ; implicit-def: $sgpr6
	s_cbranch_vccz .LBB24_192
; %bb.191:                              ;   in Loop: Header=BB24_185 Depth=1
	s_add_co_i32 s6, s12, 0xfffffed3
	s_mov_b32 s7, 0
.LBB24_192:                             ;   in Loop: Header=BB24_185 Depth=1
	s_delay_alu instid0(SALU_CYCLE_1)
	s_and_not1_b32 vcc_lo, exec_lo, s7
	s_cbranch_vccnz .LBB24_184
; %bb.193:                              ;   in Loop: Header=BB24_185 Depth=1
	s_add_co_i32 s6, s11, 0xfffffed3
	s_branch .LBB24_184
.LBB24_194:
	s_cmp_lt_i32 s24, 0x85
	s_cbranch_scc1 .LBB24_206
; %bb.195:
	v_mov_b32_e32 v4, 0
	s_add_nc_u64 s[4:5], s[52:53], s[50:51]
	s_mov_b64 s[2:3], 0xfffffffffffffbe0
	s_add_nc_u64 s[4:5], s[4:5], 0x420
	s_movk_i32 s9, 0x84
	s_movk_i32 s10, 0x108
	s_branch .LBB24_197
.LBB24_196:                             ;   in Loop: Header=BB24_197 Depth=1
	v_mov_b32_e32 v2, s6
	s_add_co_i32 s9, s9, 1
	s_add_co_i32 s10, s10, 1
	s_cmp_lg_u32 s9, s24
	s_add_nc_u64 s[4:5], s[4:5], 8
	global_store_b64 v2, v[0:1], s[36:37] scale_offset
	s_cbranch_scc0 .LBB24_206
.LBB24_197:                             ; =>This Loop Header: Depth=1
                                        ;     Child Loop BB24_198 Depth 2
	s_wait_xcnt 0x0
	v_mov_b32_e32 v0, s9
	s_mov_b64 s[6:7], s[4:5]
	s_mov_b32 s11, s10
	global_load_b64 v[0:1], v0, s[36:37] scale_offset
.LBB24_198:                             ;   Parent Loop BB24_197 Depth=1
                                        ; =>  This Inner Loop Header: Depth=2
	global_load_b64 v[2:3], v4, s[6:7] offset:-1056
	s_mov_b32 s13, -1
	s_mov_b32 s14, -1
                                        ; implicit-def: $sgpr12
	s_wait_loadcnt 0x0
	v_cmp_nlt_f64_e32 vcc_lo, v[2:3], v[0:1]
	s_cbranch_vccnz .LBB24_200
; %bb.199:                              ;   in Loop: Header=BB24_198 Depth=2
	s_add_co_i32 s12, s11, 0xffffff7c
	s_mov_b32 s13, 0
	s_cmp_lt_i32 s12, 0x108
	global_store_b64 v4, v[2:3], s[6:7]
	s_cselect_b32 s14, -1, 0
.LBB24_200:                             ;   in Loop: Header=BB24_198 Depth=2
	s_delay_alu instid0(SALU_CYCLE_1)
	s_and_not1_b32 vcc_lo, exec_lo, s14
	s_wait_xcnt 0x0
	s_add_nc_u64 s[6:7], s[6:7], s[2:3]
	s_cbranch_vccz .LBB24_202
; %bb.201:                              ;   in Loop: Header=BB24_198 Depth=2
	s_mov_b32 s11, s12
	s_branch .LBB24_198
.LBB24_202:                             ;   in Loop: Header=BB24_197 Depth=1
	s_and_not1_b32 vcc_lo, exec_lo, s13
	s_mov_b32 s7, -1
                                        ; implicit-def: $sgpr6
	s_cbranch_vccz .LBB24_204
; %bb.203:                              ;   in Loop: Header=BB24_197 Depth=1
	s_add_co_i32 s6, s12, 0xffffff7c
	s_mov_b32 s7, 0
.LBB24_204:                             ;   in Loop: Header=BB24_197 Depth=1
	s_delay_alu instid0(SALU_CYCLE_1)
	s_and_not1_b32 vcc_lo, exec_lo, s7
	s_cbranch_vccnz .LBB24_196
; %bb.205:                              ;   in Loop: Header=BB24_197 Depth=1
	s_add_co_i32 s6, s11, 0xffffff7c
	s_branch .LBB24_196
.LBB24_206:
	s_cmp_lt_i32 s24, 58
	s_cbranch_scc1 .LBB24_218
; %bb.207:
	v_mov_b32_e32 v4, 0
	s_add_nc_u64 s[4:5], s[52:53], s[50:51]
	s_mov_b64 s[2:3], 0xfffffffffffffe38
	s_add_nc_u64 s[4:5], s[4:5], 0x1c8
	s_mov_b32 s9, 57
	s_movk_i32 s10, 0x72
	s_branch .LBB24_209
.LBB24_208:                             ;   in Loop: Header=BB24_209 Depth=1
	v_mov_b32_e32 v2, s6
	s_add_co_i32 s9, s9, 1
	s_add_co_i32 s10, s10, 1
	s_cmp_lg_u32 s9, s24
	s_add_nc_u64 s[4:5], s[4:5], 8
	global_store_b64 v2, v[0:1], s[36:37] scale_offset
	s_cbranch_scc0 .LBB24_218
.LBB24_209:                             ; =>This Loop Header: Depth=1
                                        ;     Child Loop BB24_210 Depth 2
	s_wait_xcnt 0x0
	v_mov_b32_e32 v0, s9
	s_mov_b64 s[6:7], s[4:5]
	s_mov_b32 s11, s10
	global_load_b64 v[0:1], v0, s[36:37] scale_offset
.LBB24_210:                             ;   Parent Loop BB24_209 Depth=1
                                        ; =>  This Inner Loop Header: Depth=2
	global_load_b64 v[2:3], v4, s[6:7] offset:-456
	s_mov_b32 s13, -1
	s_mov_b32 s14, -1
                                        ; implicit-def: $sgpr12
	s_wait_loadcnt 0x0
	v_cmp_nlt_f64_e32 vcc_lo, v[2:3], v[0:1]
	s_cbranch_vccnz .LBB24_212
; %bb.211:                              ;   in Loop: Header=BB24_210 Depth=2
	s_sub_co_i32 s12, s11, 57
	s_mov_b32 s13, 0
	s_cmp_lt_i32 s12, 0x72
	global_store_b64 v4, v[2:3], s[6:7]
	s_cselect_b32 s14, -1, 0
.LBB24_212:                             ;   in Loop: Header=BB24_210 Depth=2
	s_delay_alu instid0(SALU_CYCLE_1)
	s_and_not1_b32 vcc_lo, exec_lo, s14
	s_wait_xcnt 0x0
	s_add_nc_u64 s[6:7], s[6:7], s[2:3]
	s_cbranch_vccz .LBB24_214
; %bb.213:                              ;   in Loop: Header=BB24_210 Depth=2
	s_mov_b32 s11, s12
	s_branch .LBB24_210
.LBB24_214:                             ;   in Loop: Header=BB24_209 Depth=1
	s_and_not1_b32 vcc_lo, exec_lo, s13
	s_mov_b32 s7, -1
                                        ; implicit-def: $sgpr6
	s_cbranch_vccz .LBB24_216
; %bb.215:                              ;   in Loop: Header=BB24_209 Depth=1
	s_sub_co_i32 s6, s12, 57
	s_mov_b32 s7, 0
.LBB24_216:                             ;   in Loop: Header=BB24_209 Depth=1
	s_delay_alu instid0(SALU_CYCLE_1)
	s_and_not1_b32 vcc_lo, exec_lo, s7
	s_cbranch_vccnz .LBB24_208
; %bb.217:                              ;   in Loop: Header=BB24_209 Depth=1
	s_sub_co_i32 s6, s11, 57
	s_branch .LBB24_208
.LBB24_218:
	s_cmp_lt_i32 s24, 24
	s_cbranch_scc1 .LBB24_230
; %bb.219:
	v_mov_b32_e32 v4, 0
	s_add_nc_u64 s[4:5], s[52:53], s[50:51]
	s_mov_b64 s[2:3], 0xffffffffffffff48
	s_add_nc_u64 s[4:5], s[4:5], 0xb8
	s_mov_b32 s9, 23
	s_mov_b32 s10, 46
	s_branch .LBB24_221
.LBB24_220:                             ;   in Loop: Header=BB24_221 Depth=1
	v_mov_b32_e32 v2, s6
	s_add_co_i32 s9, s9, 1
	s_add_co_i32 s10, s10, 1
	s_cmp_lg_u32 s9, s24
	s_add_nc_u64 s[4:5], s[4:5], 8
	global_store_b64 v2, v[0:1], s[36:37] scale_offset
	s_cbranch_scc0 .LBB24_230
.LBB24_221:                             ; =>This Loop Header: Depth=1
                                        ;     Child Loop BB24_222 Depth 2
	s_wait_xcnt 0x0
	v_mov_b32_e32 v0, s9
	s_mov_b64 s[6:7], s[4:5]
	s_mov_b32 s11, s10
	global_load_b64 v[0:1], v0, s[36:37] scale_offset
.LBB24_222:                             ;   Parent Loop BB24_221 Depth=1
                                        ; =>  This Inner Loop Header: Depth=2
	global_load_b64 v[2:3], v4, s[6:7] offset:-184
	s_mov_b32 s13, -1
	s_mov_b32 s14, -1
                                        ; implicit-def: $sgpr12
	s_wait_loadcnt 0x0
	v_cmp_nlt_f64_e32 vcc_lo, v[2:3], v[0:1]
	s_cbranch_vccnz .LBB24_224
; %bb.223:                              ;   in Loop: Header=BB24_222 Depth=2
	s_sub_co_i32 s12, s11, 23
	s_mov_b32 s13, 0
	s_cmp_lt_i32 s12, 46
	global_store_b64 v4, v[2:3], s[6:7]
	s_cselect_b32 s14, -1, 0
.LBB24_224:                             ;   in Loop: Header=BB24_222 Depth=2
	s_delay_alu instid0(SALU_CYCLE_1)
	s_and_not1_b32 vcc_lo, exec_lo, s14
	s_wait_xcnt 0x0
	s_add_nc_u64 s[6:7], s[6:7], s[2:3]
	s_cbranch_vccz .LBB24_226
; %bb.225:                              ;   in Loop: Header=BB24_222 Depth=2
	s_mov_b32 s11, s12
	s_branch .LBB24_222
.LBB24_226:                             ;   in Loop: Header=BB24_221 Depth=1
	s_and_not1_b32 vcc_lo, exec_lo, s13
	s_mov_b32 s7, -1
                                        ; implicit-def: $sgpr6
	s_cbranch_vccz .LBB24_228
; %bb.227:                              ;   in Loop: Header=BB24_221 Depth=1
	s_sub_co_i32 s6, s12, 23
	s_mov_b32 s7, 0
.LBB24_228:                             ;   in Loop: Header=BB24_221 Depth=1
	s_delay_alu instid0(SALU_CYCLE_1)
	s_and_not1_b32 vcc_lo, exec_lo, s7
	s_cbranch_vccnz .LBB24_220
; %bb.229:                              ;   in Loop: Header=BB24_221 Depth=1
	s_sub_co_i32 s6, s11, 23
	s_branch .LBB24_220
.LBB24_230:
	s_cmp_lt_i32 s24, 11
	s_cbranch_scc1 .LBB24_242
; %bb.231:
	v_mov_b32_e32 v4, 0
	s_add_nc_u64 s[4:5], s[52:53], s[50:51]
	s_mov_b64 s[2:3], 0xffffffffffffffb0
	s_add_nc_u64 s[4:5], s[4:5], 0x50
	s_mov_b32 s9, 10
	s_mov_b32 s10, 20
	s_branch .LBB24_233
.LBB24_232:                             ;   in Loop: Header=BB24_233 Depth=1
	v_mov_b32_e32 v2, s6
	s_add_co_i32 s9, s9, 1
	s_add_co_i32 s10, s10, 1
	s_cmp_lg_u32 s9, s24
	s_add_nc_u64 s[4:5], s[4:5], 8
	global_store_b64 v2, v[0:1], s[36:37] scale_offset
	s_cbranch_scc0 .LBB24_242
.LBB24_233:                             ; =>This Loop Header: Depth=1
                                        ;     Child Loop BB24_234 Depth 2
	s_wait_xcnt 0x0
	v_mov_b32_e32 v0, s9
	s_mov_b64 s[6:7], s[4:5]
	s_mov_b32 s11, s10
	global_load_b64 v[0:1], v0, s[36:37] scale_offset
.LBB24_234:                             ;   Parent Loop BB24_233 Depth=1
                                        ; =>  This Inner Loop Header: Depth=2
	global_load_b64 v[2:3], v4, s[6:7] offset:-80
	s_mov_b32 s13, -1
	s_mov_b32 s14, -1
                                        ; implicit-def: $sgpr12
	s_wait_loadcnt 0x0
	v_cmp_nlt_f64_e32 vcc_lo, v[2:3], v[0:1]
	s_cbranch_vccnz .LBB24_236
; %bb.235:                              ;   in Loop: Header=BB24_234 Depth=2
	s_add_co_i32 s12, s11, -10
	s_mov_b32 s13, 0
	s_cmp_lt_i32 s12, 20
	global_store_b64 v4, v[2:3], s[6:7]
	s_cselect_b32 s14, -1, 0
.LBB24_236:                             ;   in Loop: Header=BB24_234 Depth=2
	s_delay_alu instid0(SALU_CYCLE_1)
	s_and_not1_b32 vcc_lo, exec_lo, s14
	s_wait_xcnt 0x0
	s_add_nc_u64 s[6:7], s[6:7], s[2:3]
	s_cbranch_vccz .LBB24_238
; %bb.237:                              ;   in Loop: Header=BB24_234 Depth=2
	s_mov_b32 s11, s12
	s_branch .LBB24_234
.LBB24_238:                             ;   in Loop: Header=BB24_233 Depth=1
	s_and_not1_b32 vcc_lo, exec_lo, s13
	s_mov_b32 s7, -1
                                        ; implicit-def: $sgpr6
	s_cbranch_vccz .LBB24_240
; %bb.239:                              ;   in Loop: Header=BB24_233 Depth=1
	s_add_co_i32 s6, s12, -10
	s_mov_b32 s7, 0
.LBB24_240:                             ;   in Loop: Header=BB24_233 Depth=1
	s_delay_alu instid0(SALU_CYCLE_1)
	s_and_not1_b32 vcc_lo, exec_lo, s7
	s_cbranch_vccnz .LBB24_232
; %bb.241:                              ;   in Loop: Header=BB24_233 Depth=1
	s_add_co_i32 s6, s11, -10
	s_branch .LBB24_232
.LBB24_242:
	s_cmp_lt_i32 s24, 5
	s_cbranch_scc1 .LBB24_254
; %bb.243:
	v_mov_b32_e32 v4, 0
	s_add_nc_u64 s[4:5], s[52:53], s[50:51]
	s_mov_b64 s[2:3], 0xffffffffffffffe0
	s_add_nc_u64 s[4:5], s[4:5], 32
	s_mov_b32 s9, 4
	s_mov_b32 s10, 8
	s_branch .LBB24_245
.LBB24_244:                             ;   in Loop: Header=BB24_245 Depth=1
	v_mov_b32_e32 v2, s6
	s_add_co_i32 s9, s9, 1
	s_add_co_i32 s10, s10, 1
	s_cmp_lg_u32 s9, s24
	s_add_nc_u64 s[4:5], s[4:5], 8
	global_store_b64 v2, v[0:1], s[36:37] scale_offset
	s_cbranch_scc0 .LBB24_254
.LBB24_245:                             ; =>This Loop Header: Depth=1
                                        ;     Child Loop BB24_246 Depth 2
	s_wait_xcnt 0x0
	v_mov_b32_e32 v0, s9
	s_mov_b64 s[6:7], s[4:5]
	s_mov_b32 s11, s10
	global_load_b64 v[0:1], v0, s[36:37] scale_offset
.LBB24_246:                             ;   Parent Loop BB24_245 Depth=1
                                        ; =>  This Inner Loop Header: Depth=2
	global_load_b64 v[2:3], v4, s[6:7] offset:-32
	s_mov_b32 s13, -1
	s_mov_b32 s14, -1
                                        ; implicit-def: $sgpr12
	s_wait_loadcnt 0x0
	v_cmp_nlt_f64_e32 vcc_lo, v[2:3], v[0:1]
	s_cbranch_vccnz .LBB24_248
; %bb.247:                              ;   in Loop: Header=BB24_246 Depth=2
	s_add_co_i32 s12, s11, -4
	s_mov_b32 s13, 0
	s_cmp_lt_i32 s12, 8
	global_store_b64 v4, v[2:3], s[6:7]
	s_cselect_b32 s14, -1, 0
.LBB24_248:                             ;   in Loop: Header=BB24_246 Depth=2
	s_delay_alu instid0(SALU_CYCLE_1)
	s_and_not1_b32 vcc_lo, exec_lo, s14
	s_wait_xcnt 0x0
	s_add_nc_u64 s[6:7], s[6:7], s[2:3]
	s_cbranch_vccz .LBB24_250
; %bb.249:                              ;   in Loop: Header=BB24_246 Depth=2
	s_mov_b32 s11, s12
	s_branch .LBB24_246
.LBB24_250:                             ;   in Loop: Header=BB24_245 Depth=1
	s_and_not1_b32 vcc_lo, exec_lo, s13
	s_mov_b32 s7, -1
                                        ; implicit-def: $sgpr6
	s_cbranch_vccz .LBB24_252
; %bb.251:                              ;   in Loop: Header=BB24_245 Depth=1
	s_add_co_i32 s6, s12, -4
	s_mov_b32 s7, 0
.LBB24_252:                             ;   in Loop: Header=BB24_245 Depth=1
	s_delay_alu instid0(SALU_CYCLE_1)
	s_and_not1_b32 vcc_lo, exec_lo, s7
	s_cbranch_vccnz .LBB24_244
; %bb.253:                              ;   in Loop: Header=BB24_245 Depth=1
	s_add_co_i32 s6, s11, -4
	s_branch .LBB24_244
.LBB24_254:
	s_cmp_lt_i32 s24, 2
	s_mov_b32 s6, 2
	s_cbranch_scc1 .LBB24_263
; %bb.255:
	v_mov_b32_e32 v4, 0
	s_add_nc_u64 s[2:3], s[52:53], s[50:51]
	s_mov_b32 s7, 1
	s_add_nc_u64 s[2:3], s[2:3], 8
	s_branch .LBB24_257
.LBB24_256:                             ;   in Loop: Header=BB24_257 Depth=1
	v_mov_b32_e32 v2, s4
	s_add_co_i32 s7, s7, 1
	s_add_co_i32 s6, s6, 1
	s_cmp_eq_u32 s7, s24
	s_add_nc_u64 s[2:3], s[2:3], 8
	global_store_b64 v2, v[0:1], s[36:37] scale_offset
	s_cbranch_scc1 .LBB24_263
.LBB24_257:                             ; =>This Loop Header: Depth=1
                                        ;     Child Loop BB24_259 Depth 2
	s_wait_xcnt 0x0
	v_mov_b32_e32 v0, s7
	s_mov_b64 s[4:5], s[2:3]
	s_mov_b32 s10, s6
	global_load_b64 v[0:1], v0, s[36:37] scale_offset
	s_branch .LBB24_259
.LBB24_258:                             ;   in Loop: Header=BB24_259 Depth=2
	s_and_not1_b32 vcc_lo, exec_lo, s12
	s_wait_xcnt 0x0
	s_add_nc_u64 s[4:5], s[4:5], -8
	s_cbranch_vccz .LBB24_261
.LBB24_259:                             ;   Parent Loop BB24_257 Depth=1
                                        ; =>  This Inner Loop Header: Depth=2
	global_load_b64 v[2:3], v4, s[4:5] offset:-8
	s_mov_b32 s9, s10
	s_mov_b32 s11, -1
	s_mov_b32 s12, -1
                                        ; implicit-def: $sgpr10
	s_wait_loadcnt 0x0
	v_cmp_nlt_f64_e32 vcc_lo, v[2:3], v[0:1]
	s_cbranch_vccnz .LBB24_258
; %bb.260:                              ;   in Loop: Header=BB24_259 Depth=2
	s_add_co_i32 s10, s9, -1
	s_mov_b32 s11, 0
	s_cmp_lt_i32 s10, 2
	global_store_b64 v4, v[2:3], s[4:5]
	s_cselect_b32 s12, -1, 0
	s_branch .LBB24_258
.LBB24_261:                             ;   in Loop: Header=BB24_257 Depth=1
	s_and_b32 vcc_lo, exec_lo, s11
	s_mov_b32 s4, 0
	s_cbranch_vccz .LBB24_256
; %bb.262:                              ;   in Loop: Header=BB24_257 Depth=1
	s_add_co_i32 s4, s9, -1
	s_branch .LBB24_256
.LBB24_263:
	s_wait_xcnt 0x0
	s_or_b32 exec_lo, exec_lo, s8
	s_cmp_lt_i32 s24, 2
	s_mov_b32 s56, 0
	s_cselect_b32 s5, -1, 0
	s_wait_storecnt 0x0
	s_and_b32 vcc_lo, exec_lo, s5
	s_barrier_signal -1
	s_barrier_wait -1
	s_cbranch_vccnz .LBB24_271
; %bb.264:
	s_add_co_i32 s4, s24, -1
	s_mov_b32 s5, -1
	s_mov_b32 s2, 0
	s_mov_b32 s3, exec_lo
	v_cmpx_gt_u32_e64 s4, v41
	s_cbranch_execz .LBB24_273
; %bb.265:
	v_dual_mov_b32 v1, 0 :: v_dual_mov_b32 v0, v41
	s_mov_b32 s5, 0
                                        ; implicit-def: $sgpr6
	s_branch .LBB24_267
.LBB24_266:                             ;   in Loop: Header=BB24_267 Depth=1
	s_or_b32 exec_lo, exec_lo, s9
	s_xor_b32 s7, s8, -1
	s_and_b32 s2, exec_lo, s2
	s_delay_alu instid0(SALU_CYCLE_1) | instskip(SKIP_2) | instid1(SALU_CYCLE_1)
	s_or_b32 s5, s2, s5
	s_and_not1_b32 s2, s6, exec_lo
	s_and_b32 s6, s7, exec_lo
	s_or_b32 s6, s2, s6
	s_and_not1_b32 exec_lo, exec_lo, s5
	s_cbranch_execz .LBB24_272
.LBB24_267:                             ; =>This Inner Loop Header: Depth=1
	global_load_b64 v[2:3], v0, s[36:37] scale_offset
	s_mov_b32 s8, exec_lo
	s_wait_loadcnt 0x0
	v_cmp_u_f64_e64 s7, v[2:3], v[2:3]
	v_cmpx_o_f64_e32 v[2:3], v[2:3]
	s_cbranch_execz .LBB24_269
; %bb.268:                              ;   in Loop: Header=BB24_267 Depth=1
	v_lshl_add_u64 v[4:5], v[0:1], 3, s[36:37]
	s_and_not1_b32 s7, s7, exec_lo
	global_load_b64 v[4:5], v[4:5], off offset:8
	s_wait_loadcnt 0x0
	v_cmp_u_f64_e32 vcc_lo, v[4:5], v[4:5]
	v_cmp_ge_f64_e64 s2, v[2:3], v[4:5]
	s_or_b32 s2, vcc_lo, s2
	s_delay_alu instid0(SALU_CYCLE_1) | instskip(NEXT) | instid1(SALU_CYCLE_1)
	s_and_b32 s2, s2, exec_lo
	s_or_b32 s7, s7, s2
.LBB24_269:                             ;   in Loop: Header=BB24_267 Depth=1
	s_or_b32 exec_lo, exec_lo, s8
	s_mov_b32 s2, -1
	s_mov_b32 s8, -1
	s_and_saveexec_b32 s9, s7
	s_cbranch_execz .LBB24_266
; %bb.270:                              ;   in Loop: Header=BB24_267 Depth=1
	v_add_nc_u32_e32 v0, s46, v0
	s_xor_b32 s8, exec_lo, -1
	s_delay_alu instid0(VALU_DEP_1)
	v_cmp_le_u32_e32 vcc_lo, s4, v0
	s_or_not1_b32 s2, vcc_lo, exec_lo
	s_branch .LBB24_266
.LBB24_271:
	s_mov_b32 s2, 0
	s_branch .LBB24_274
.LBB24_272:
	s_or_b32 exec_lo, exec_lo, s5
	s_delay_alu instid0(SALU_CYCLE_1)
	s_mov_b32 s2, exec_lo
	s_or_not1_b32 s5, s6, exec_lo
.LBB24_273:
	s_or_b32 exec_lo, exec_lo, s3
.LBB24_274:
	s_and_saveexec_b32 s3, s5
	s_cbranch_execz .LBB24_276
; %bb.275:
	s_mov_b32 s56, exec_lo
	s_barrier_signal -1
	s_barrier_wait -1
	s_and_not1_b32 s2, s2, exec_lo
.LBB24_276:
	s_or_b32 exec_lo, exec_lo, s3
	s_and_saveexec_b32 s40, s2
	s_cbranch_execz .LBB24_278
; %bb.277:
	s_get_pc_i64 s[2:3]
	s_add_nc_u64 s[2:3], s[2:3], __PRETTY_FUNCTION__._ZN9rocsolver6v33100L21shell_sort_descendingIdiEEvT0_PT_PS2_@rel64+4
	s_add_nc_u64 s[8:9], s[0:1], 0x90
	v_dual_mov_b32 v0, s2 :: v_dual_mov_b32 v1, s3
	s_get_pc_i64 s[0:1]
	s_add_nc_u64 s[0:1], s[0:1], __assert_fail@rel64+4
	s_delay_alu instid0(SALU_CYCLE_1)
	s_swap_pc_i64 s[30:31], s[0:1]
	s_or_b32 s54, s54, exec_lo
.LBB24_278:
	s_or_b32 exec_lo, exec_lo, s40
.LBB24_279:
	s_wait_xcnt 0x0
	s_and_saveexec_b32 s0, s54
; %bb.280:
	; divergent unreachable
; %bb.281:
	s_delay_alu instid0(SALU_CYCLE_1)
	s_or_b32 exec_lo, exec_lo, s0
	s_and_saveexec_b32 s0, s56
	s_cbranch_execz .LBB24_283
; %bb.282:
	s_wait_storecnt 0x0
	s_barrier_signal -1
	s_barrier_wait -1
.LBB24_283:
	s_or_b32 exec_lo, exec_lo, s0
	s_cbranch_execnz .LBB24_307
.LBB24_284:
	s_cmp_lt_i32 s24, 2
	s_cbranch_scc1 .LBB24_307
; %bb.285:
	v_mul_lo_u32 v2, s47, v41
	v_mul_lo_u32 v3, s49, v41
	s_cmp_lg_u32 s25, 0
	v_cmp_eq_u32_e64 s0, 0, v41
	s_wait_xcnt 0x0
	s_cselect_b32 s12, -1, 0
	s_cmp_lg_u32 s26, 0
	v_cmp_gt_i32_e64 s1, s25, v41
	v_cmp_gt_i32_e64 s2, s26, v41
	v_cmp_gt_i32_e64 s3, s27, v41
	v_mov_b32_e32 v4, 0
	s_cselect_b32 s13, -1, 0
	s_cmp_lg_u32 s27, 0
	s_add_nc_u64 s[6:7], s[52:53], s[50:51]
	s_mov_b32 s5, 0
	s_cselect_b32 s14, -1, 0
	s_add_co_i32 s15, s24, -2
	s_add_nc_u64 s[6:7], s[6:7], 8
	s_mul_i32 s16, s47, s21
	s_mul_i32 s17, s49, s21
	s_mov_b32 s18, 0
	s_mov_b32 s19, 0
	s_branch .LBB24_288
.LBB24_286:                             ;   in Loop: Header=BB24_288 Depth=1
	s_or_b32 exec_lo, exec_lo, s8
	s_wait_storecnt 0x0
	s_barrier_signal -1
	s_barrier_wait -1
.LBB24_287:                             ;   in Loop: Header=BB24_288 Depth=1
	s_add_co_i32 s18, s18, s43
	s_cmp_eq_u32 s4, s15
	s_add_nc_u64 s[6:7], s[6:7], 8
	s_cbranch_scc1 .LBB24_307
.LBB24_288:                             ; =>This Loop Header: Depth=1
                                        ;     Child Loop BB24_289 Depth 2
                                        ;     Child Loop BB24_296 Depth 2
	;; [unrolled: 1-line block ×4, first 2 shown]
	v_mov_b32_e32 v0, s19
	s_mov_b32 s4, s19
	s_add_co_i32 s19, s19, 1
	s_lshl_b64 s[8:9], s[4:5], 3
	s_mov_b64 s[10:11], s[6:7]
	global_load_b64 v[0:1], v0, s[36:37] scale_offset
	s_add_nc_u64 s[8:9], s[36:37], s[8:9]
	s_mov_b32 s30, s19
	s_mov_b32 s20, s4
.LBB24_289:                             ;   Parent Loop BB24_288 Depth=1
                                        ; =>  This Inner Loop Header: Depth=2
	global_load_b64 v[6:7], v4, s[10:11]
	s_wait_xcnt 0x0
	s_add_nc_u64 s[10:11], s[10:11], 8
	s_wait_loadcnt 0x0
	v_cmp_gt_f64_e32 vcc_lo, v[6:7], v[0:1]
	v_dual_cndmask_b32 v1, v1, v7 :: v_dual_cndmask_b32 v0, v0, v6
	s_and_b32 s31, vcc_lo, exec_lo
	s_cselect_b32 s20, s30, s20
	s_add_co_i32 s30, s30, 1
	s_delay_alu instid0(SALU_CYCLE_1)
	s_cmp_lg_u32 s24, s30
	s_cbranch_scc1 .LBB24_289
; %bb.290:                              ;   in Loop: Header=BB24_288 Depth=1
	s_cmp_eq_u32 s20, s4
	s_wait_storecnt 0x0
	s_barrier_signal -1
	s_barrier_wait -1
	s_cbranch_scc1 .LBB24_287
; %bb.291:                              ;   in Loop: Header=BB24_288 Depth=1
	s_and_saveexec_b32 s10, s0
	s_cbranch_execz .LBB24_293
; %bb.292:                              ;   in Loop: Header=BB24_288 Depth=1
	global_load_b64 v[6:7], v4, s[8:9]
	v_mov_b32_e32 v5, s20
	s_wait_loadcnt 0x0
	s_clause 0x1
	global_store_b64 v5, v[6:7], s[36:37] scale_offset
	global_store_b64 v4, v[0:1], s[8:9]
.LBB24_293:                             ;   in Loop: Header=BB24_288 Depth=1
	s_wait_xcnt 0x0
	s_or_b32 exec_lo, exec_lo, s10
	s_delay_alu instid0(SALU_CYCLE_1)
	s_and_not1_b32 vcc_lo, exec_lo, s12
	s_cbranch_vccnz .LBB24_298
; %bb.294:                              ;   in Loop: Header=BB24_288 Depth=1
	s_and_saveexec_b32 s8, s1
	s_cbranch_execz .LBB24_297
; %bb.295:                              ;   in Loop: Header=BB24_288 Depth=1
	v_dual_mov_b32 v0, v2 :: v_dual_mov_b32 v1, v41
	s_mov_b32 s9, 0
.LBB24_296:                             ;   Parent Loop BB24_288 Depth=1
                                        ; =>  This Inner Loop Header: Depth=2
	s_delay_alu instid0(VALU_DEP_1) | instskip(NEXT) | instid1(VALU_DEP_2)
	v_dual_add_nc_u32 v5, s4, v0 :: v_dual_add_nc_u32 v10, s20, v0
	v_dual_add_nc_u32 v1, s21, v1 :: v_dual_add_nc_u32 v0, s16, v0
	s_clause 0x1
	global_load_b64 v[6:7], v5, s[34:35] scale_offset
	global_load_b64 v[8:9], v10, s[34:35] scale_offset
	s_wait_loadcnt 0x1
	global_store_b64 v10, v[6:7], s[34:35] scale_offset
	s_wait_loadcnt 0x0
	global_store_b64 v5, v[8:9], s[34:35] scale_offset
	v_cmp_le_i32_e32 vcc_lo, s25, v1
	s_or_b32 s9, vcc_lo, s9
	s_wait_xcnt 0x0
	s_and_not1_b32 exec_lo, exec_lo, s9
	s_cbranch_execnz .LBB24_296
.LBB24_297:                             ;   in Loop: Header=BB24_288 Depth=1
	s_or_b32 exec_lo, exec_lo, s8
	s_wait_storecnt 0x0
	s_barrier_signal -1
	s_barrier_wait -1
.LBB24_298:                             ;   in Loop: Header=BB24_288 Depth=1
	s_and_not1_b32 vcc_lo, exec_lo, s13
	s_cbranch_vccnz .LBB24_303
; %bb.299:                              ;   in Loop: Header=BB24_288 Depth=1
	s_and_saveexec_b32 s8, s2
	s_cbranch_execz .LBB24_302
; %bb.300:                              ;   in Loop: Header=BB24_288 Depth=1
	v_mov_b32_e32 v0, v41
	s_mul_i32 s9, s20, s43
	s_mov_b32 s10, 0
.LBB24_301:                             ;   Parent Loop BB24_288 Depth=1
                                        ; =>  This Inner Loop Header: Depth=2
	s_delay_alu instid0(VALU_DEP_1)
	v_dual_add_nc_u32 v1, s18, v0 :: v_dual_add_nc_u32 v5, s9, v0
	v_add_nc_u32_e32 v0, s21, v0
	s_clause 0x1
	global_load_b64 v[6:7], v1, s[28:29] scale_offset
	global_load_b64 v[8:9], v5, s[28:29] scale_offset
	s_wait_loadcnt 0x1
	global_store_b64 v5, v[6:7], s[28:29] scale_offset
	s_wait_loadcnt 0x0
	global_store_b64 v1, v[8:9], s[28:29] scale_offset
	v_cmp_le_i32_e32 vcc_lo, s26, v0
	s_or_b32 s10, vcc_lo, s10
	s_wait_xcnt 0x0
	s_and_not1_b32 exec_lo, exec_lo, s10
	s_cbranch_execnz .LBB24_301
.LBB24_302:                             ;   in Loop: Header=BB24_288 Depth=1
	s_or_b32 exec_lo, exec_lo, s8
	s_wait_storecnt 0x0
	s_barrier_signal -1
	s_barrier_wait -1
.LBB24_303:                             ;   in Loop: Header=BB24_288 Depth=1
	s_and_not1_b32 vcc_lo, exec_lo, s14
	s_cbranch_vccnz .LBB24_287
; %bb.304:                              ;   in Loop: Header=BB24_288 Depth=1
	s_and_saveexec_b32 s8, s3
	s_cbranch_execz .LBB24_286
; %bb.305:                              ;   in Loop: Header=BB24_288 Depth=1
	v_dual_mov_b32 v0, v3 :: v_dual_mov_b32 v1, v41
	s_mov_b32 s9, 0
.LBB24_306:                             ;   Parent Loop BB24_288 Depth=1
                                        ; =>  This Inner Loop Header: Depth=2
	s_delay_alu instid0(VALU_DEP_1) | instskip(NEXT) | instid1(VALU_DEP_2)
	v_dual_add_nc_u32 v5, s4, v0 :: v_dual_add_nc_u32 v10, s20, v0
	v_dual_add_nc_u32 v1, s21, v1 :: v_dual_add_nc_u32 v0, s17, v0
	s_clause 0x1
	global_load_b64 v[6:7], v5, s[44:45] scale_offset
	global_load_b64 v[8:9], v10, s[44:45] scale_offset
	s_wait_loadcnt 0x1
	global_store_b64 v10, v[6:7], s[44:45] scale_offset
	s_wait_loadcnt 0x0
	global_store_b64 v5, v[8:9], s[44:45] scale_offset
	v_cmp_le_i32_e32 vcc_lo, s27, v1
	s_or_b32 s9, vcc_lo, s9
	s_wait_xcnt 0x0
	s_and_not1_b32 exec_lo, exec_lo, s9
	s_cbranch_execnz .LBB24_306
	s_branch .LBB24_286
.LBB24_307:
	s_mov_b32 s2, 0
.LBB24_308:
	s_delay_alu instid0(SALU_CYCLE_1)
	s_and_not1_b32 vcc_lo, exec_lo, s2
	s_cbranch_vccnz .LBB24_311
; %bb.309:
	s_mov_b32 s0, exec_lo
	s_wait_xcnt 0x0
	v_cmpx_eq_u32_e32 0, v41
	s_cbranch_execz .LBB24_311
; %bb.310:
	v_dual_mov_b32 v0, 0 :: v_dual_mov_b32 v1, s42
	s_add_nc_u64 s[0:1], s[38:39], s[22:23]
	global_store_b32 v0, v1, s[0:1]
.LBB24_311:
	s_endpgm
	.section	.rodata,"a",@progbits
	.p2align	6, 0x0
	.amdhsa_kernel _ZN9rocsolver6v33100L14bdsqr_finalizeIddPdS2_S2_EEviiiiPT0_lS4_lT1_iilT2_iilT3_iilPiS8_S8_
		.amdhsa_group_segment_fixed_size 0
		.amdhsa_private_segment_fixed_size 64
		.amdhsa_kernarg_size 400
		.amdhsa_user_sgpr_count 2
		.amdhsa_user_sgpr_dispatch_ptr 0
		.amdhsa_user_sgpr_queue_ptr 0
		.amdhsa_user_sgpr_kernarg_segment_ptr 1
		.amdhsa_user_sgpr_dispatch_id 0
		.amdhsa_user_sgpr_kernarg_preload_length 0
		.amdhsa_user_sgpr_kernarg_preload_offset 0
		.amdhsa_user_sgpr_private_segment_size 0
		.amdhsa_wavefront_size32 1
		.amdhsa_uses_dynamic_stack 0
		.amdhsa_enable_private_segment 1
		.amdhsa_system_sgpr_workgroup_id_x 1
		.amdhsa_system_sgpr_workgroup_id_y 1
		.amdhsa_system_sgpr_workgroup_id_z 0
		.amdhsa_system_sgpr_workgroup_info 0
		.amdhsa_system_vgpr_workitem_id 2
		.amdhsa_next_free_vgpr 49
		.amdhsa_next_free_sgpr 60
		.amdhsa_named_barrier_count 0
		.amdhsa_reserve_vcc 1
		.amdhsa_float_round_mode_32 0
		.amdhsa_float_round_mode_16_64 0
		.amdhsa_float_denorm_mode_32 3
		.amdhsa_float_denorm_mode_16_64 3
		.amdhsa_fp16_overflow 0
		.amdhsa_memory_ordered 1
		.amdhsa_forward_progress 1
		.amdhsa_inst_pref_size 64
		.amdhsa_round_robin_scheduling 0
		.amdhsa_exception_fp_ieee_invalid_op 0
		.amdhsa_exception_fp_denorm_src 0
		.amdhsa_exception_fp_ieee_div_zero 0
		.amdhsa_exception_fp_ieee_overflow 0
		.amdhsa_exception_fp_ieee_underflow 0
		.amdhsa_exception_fp_ieee_inexact 0
		.amdhsa_exception_int_div_zero 0
	.end_amdhsa_kernel
	.section	.text._ZN9rocsolver6v33100L14bdsqr_finalizeIddPdS2_S2_EEviiiiPT0_lS4_lT1_iilT2_iilT3_iilPiS8_S8_,"axG",@progbits,_ZN9rocsolver6v33100L14bdsqr_finalizeIddPdS2_S2_EEviiiiPT0_lS4_lT1_iilT2_iilT3_iilPiS8_S8_,comdat
.Lfunc_end24:
	.size	_ZN9rocsolver6v33100L14bdsqr_finalizeIddPdS2_S2_EEviiiiPT0_lS4_lT1_iilT2_iilT3_iilPiS8_S8_, .Lfunc_end24-_ZN9rocsolver6v33100L14bdsqr_finalizeIddPdS2_S2_EEviiiiPT0_lS4_lT1_iilT2_iilT3_iilPiS8_S8_
                                        ; -- End function
	.set _ZN9rocsolver6v33100L14bdsqr_finalizeIddPdS2_S2_EEviiiiPT0_lS4_lT1_iilT2_iilT3_iilPiS8_S8_.num_vgpr, max(45, .L__assert_fail.num_vgpr)
	.set _ZN9rocsolver6v33100L14bdsqr_finalizeIddPdS2_S2_EEviiiiPT0_lS4_lT1_iilT2_iilT3_iilPiS8_S8_.num_agpr, max(0, .L__assert_fail.num_agpr)
	.set _ZN9rocsolver6v33100L14bdsqr_finalizeIddPdS2_S2_EEviiiiPT0_lS4_lT1_iilT2_iilT3_iilPiS8_S8_.numbered_sgpr, max(60, .L__assert_fail.numbered_sgpr)
	.set _ZN9rocsolver6v33100L14bdsqr_finalizeIddPdS2_S2_EEviiiiPT0_lS4_lT1_iilT2_iilT3_iilPiS8_S8_.num_named_barrier, max(0, .L__assert_fail.num_named_barrier)
	.set _ZN9rocsolver6v33100L14bdsqr_finalizeIddPdS2_S2_EEviiiiPT0_lS4_lT1_iilT2_iilT3_iilPiS8_S8_.private_seg_size, 0+max(.L__assert_fail.private_seg_size)
	.set _ZN9rocsolver6v33100L14bdsqr_finalizeIddPdS2_S2_EEviiiiPT0_lS4_lT1_iilT2_iilT3_iilPiS8_S8_.uses_vcc, or(1, .L__assert_fail.uses_vcc)
	.set _ZN9rocsolver6v33100L14bdsqr_finalizeIddPdS2_S2_EEviiiiPT0_lS4_lT1_iilT2_iilT3_iilPiS8_S8_.uses_flat_scratch, or(0, .L__assert_fail.uses_flat_scratch)
	.set _ZN9rocsolver6v33100L14bdsqr_finalizeIddPdS2_S2_EEviiiiPT0_lS4_lT1_iilT2_iilT3_iilPiS8_S8_.has_dyn_sized_stack, or(0, .L__assert_fail.has_dyn_sized_stack)
	.set _ZN9rocsolver6v33100L14bdsqr_finalizeIddPdS2_S2_EEviiiiPT0_lS4_lT1_iilT2_iilT3_iilPiS8_S8_.has_recursion, or(0, .L__assert_fail.has_recursion)
	.set _ZN9rocsolver6v33100L14bdsqr_finalizeIddPdS2_S2_EEviiiiPT0_lS4_lT1_iilT2_iilT3_iilPiS8_S8_.has_indirect_call, or(0, .L__assert_fail.has_indirect_call)
	.section	.AMDGPU.csdata,"",@progbits
; Kernel info:
; codeLenInByte = 8120
; TotalNumSgprs: 62
; NumVgprs: 49
; ScratchSize: 64
; MemoryBound: 0
; FloatMode: 240
; IeeeMode: 1
; LDSByteSize: 0 bytes/workgroup (compile time only)
; SGPRBlocks: 0
; VGPRBlocks: 3
; NumSGPRsForWavesPerEU: 62
; NumVGPRsForWavesPerEU: 49
; NamedBarCnt: 0
; Occupancy: 16
; WaveLimiterHint : 1
; COMPUTE_PGM_RSRC2:SCRATCH_EN: 1
; COMPUTE_PGM_RSRC2:USER_SGPR: 2
; COMPUTE_PGM_RSRC2:TRAP_HANDLER: 0
; COMPUTE_PGM_RSRC2:TGID_X_EN: 1
; COMPUTE_PGM_RSRC2:TGID_Y_EN: 1
; COMPUTE_PGM_RSRC2:TGID_Z_EN: 0
; COMPUTE_PGM_RSRC2:TIDIG_COMP_CNT: 2
	.section	.text._ZN9rocsolver6v33100L10bdsqr_initI19rocblas_complex_numIfEfEEviPT0_lS5_lPiiS4_S4_S6_S5_lS6_,"axG",@progbits,_ZN9rocsolver6v33100L10bdsqr_initI19rocblas_complex_numIfEfEEviPT0_lS5_lPiiS4_S4_S6_S5_lS6_,comdat
	.globl	_ZN9rocsolver6v33100L10bdsqr_initI19rocblas_complex_numIfEfEEviPT0_lS5_lPiiS4_S4_S6_S5_lS6_ ; -- Begin function _ZN9rocsolver6v33100L10bdsqr_initI19rocblas_complex_numIfEfEEviPT0_lS5_lPiiS4_S4_S6_S5_lS6_
	.p2align	8
	.type	_ZN9rocsolver6v33100L10bdsqr_initI19rocblas_complex_numIfEfEEviPT0_lS5_lPiiS4_S4_S6_S5_lS6_,@function
_ZN9rocsolver6v33100L10bdsqr_initI19rocblas_complex_numIfEfEEviPT0_lS5_lPiiS4_S4_S6_S5_lS6_: ; @_ZN9rocsolver6v33100L10bdsqr_initI19rocblas_complex_numIfEfEEviPT0_lS5_lPiiS4_S4_S6_S5_lS6_
; %bb.0:
	s_clause 0x1
	s_load_b32 s2, s[0:1], 0x0
	s_load_b256 s[4:11], s[0:1], 0x8
	s_bfe_u32 s3, ttmp6, 0x40010
	s_bfe_u32 s12, ttmp6, 0x40004
	s_add_co_i32 s3, s3, 1
	s_getreg_b32 s13, hwreg(HW_REG_IB_STS2, 6, 4)
	s_mul_i32 s3, ttmp7, s3
	s_delay_alu instid0(SALU_CYCLE_1)
	s_add_co_i32 s12, s12, s3
	s_wait_kmcnt 0x0
	s_ashr_i32 s3, s2, 31
	s_cmp_eq_u32 s13, 0
	v_cmp_gt_i64_e64 s22, s[2:3], 1
	s_cselect_b32 s14, ttmp7, s12
	s_lshl_b64 s[12:13], s[2:3], 2
	s_ashr_i32 s15, s14, 31
	s_delay_alu instid0(SALU_CYCLE_1) | instskip(NEXT) | instid1(SALU_CYCLE_1)
	s_mul_u64 s[6:7], s[6:7], s[14:15]
	s_lshl_b64 s[6:7], s[6:7], 2
	s_delay_alu instid0(SALU_CYCLE_1) | instskip(NEXT) | instid1(SALU_CYCLE_1)
	s_add_nc_u64 s[18:19], s[4:5], s[6:7]
	s_add_nc_u64 s[12:13], s[18:19], s[12:13]
	s_delay_alu instid0(SALU_CYCLE_1)
	s_add_nc_u64 s[4:5], s[12:13], -4
	s_clause 0x1
	s_load_b32 s23, s[18:19], 0x0
	s_load_b32 s24, s[4:5], 0x0
	s_load_b64 s[16:17], s[0:1], 0x28
	s_wait_xcnt 0x0
	s_mul_u64 s[4:5], s[10:11], s[14:15]
	s_delay_alu instid0(SALU_CYCLE_1)
	s_lshl_b64 s[6:7], s[4:5], 2
	v_cmp_lt_i64_e64 s5, s[2:3], 2
	s_add_nc_u64 s[20:21], s[8:9], s[6:7]
	s_mov_b32 s4, 1
	s_wait_kmcnt 0x0
	s_cmp_ge_f32 s23, s24
	s_cselect_b32 s3, -1, 0
	s_delay_alu instid0(SALU_CYCLE_1)
	s_and_b32 s6, s3, exec_lo
	s_cselect_b32 s6, s23, s24
	s_and_b32 vcc_lo, exec_lo, s5
	s_and_b32 s23, s6, 0x7fffffff
	s_cbranch_vccnz .LBB25_3
; %bb.1:
	s_add_co_i32 s5, s2, -2
	s_mov_b32 s6, s23
.LBB25_2:                               ; =>This Inner Loop Header: Depth=1
	s_and_b32 s7, s3, exec_lo
	s_cselect_b32 s8, s4, s5
	s_add_co_i32 s7, s4, -1
	s_and_b32 s9, s3, exec_lo
	s_cselect_b32 s10, s7, s5
	s_ashr_i32 s9, s8, 31
	s_ashr_i32 s11, s10, 31
	s_lshl_b64 s[8:9], s[8:9], 2
	s_lshl_b64 s[10:11], s[10:11], 2
	s_add_nc_u64 s[8:9], s[18:19], s[8:9]
	s_add_nc_u64 s[10:11], s[20:21], s[10:11]
	s_load_b32 s8, s[8:9], 0x0
	s_wait_kmcnt 0x0
	s_bitset0_b32 s8, 31
	s_load_b32 s7, s[10:11], 0x0
	s_wait_kmcnt 0x0
	s_bitset0_b32 s7, 31
	s_delay_alu instid0(SALU_CYCLE_1) | instskip(NEXT) | instid1(SALU_CYCLE_3)
	s_add_f32 s7, s6, s7
	v_div_scale_f32 v0, null, s7, s7, s6
	v_div_scale_f32 v3, vcc_lo, s6, s7, s6
	s_delay_alu instid0(VALU_DEP_2)
	v_rcp_f32_e32 v1, v0
	v_nop
	v_xor_b32_e32 v0, 0x80000000, v0
	s_delay_alu instid0(TRANS32_DEP_1) | instid1(VALU_DEP_1)
	v_fma_f32 v2, v0, v1, 1.0
	s_delay_alu instid0(VALU_DEP_1) | instskip(NEXT) | instid1(VALU_DEP_1)
	v_fmac_f32_e32 v1, v2, v1
	v_mul_f32_e32 v2, v3, v1
	s_delay_alu instid0(VALU_DEP_1) | instskip(NEXT) | instid1(VALU_DEP_1)
	v_fma_f32 v4, v0, v2, v3
	v_fmac_f32_e32 v2, v4, v1
	s_delay_alu instid0(VALU_DEP_1) | instskip(NEXT) | instid1(VALU_DEP_1)
	v_fmac_f32_e32 v3, v0, v2
	v_div_fmas_f32 v0, v3, v1, v2
	s_delay_alu instid0(VALU_DEP_1) | instskip(NEXT) | instid1(VALU_DEP_1)
	v_div_fixup_f32 v0, v0, s7, s6
	v_readfirstlane_b32 s6, v0
	s_mul_f32 s6, s8, s6
	s_delay_alu instid0(SALU_CYCLE_3)
	s_cmp_lt_f32 s6, s23
	s_cselect_b32 s23, s6, s23
	s_add_co_i32 s4, s4, 1
	s_add_co_i32 s5, s5, -1
	s_cmp_lg_u32 s4, s2
	s_cbranch_scc1 .LBB25_2
.LBB25_3:
	v_cvt_f64_i32_e32 v[0:1], s2
	s_load_b256 s[4:11], s[0:1], 0x40
	s_lshl_b32 s25, s2, 1
	s_add_co_i32 s3, s2, -1
	s_mul_i32 s26, s25, s14
	s_load_b96 s[28:30], s[0:1], 0x30
	s_ashr_i32 s27, s26, 31
	s_mov_b32 s24, 0
	s_lshl_b64 s[26:27], s[26:27], 2
	s_wait_kmcnt 0x0
	s_mul_u64 s[8:9], s[8:9], s[14:15]
	s_delay_alu instid0(SALU_CYCLE_1) | instskip(SKIP_2) | instid1(VALU_DEP_1)
	s_lshl_b64 s[34:35], s[8:9], 2
	s_mul_f32 s0, s30, s23
	s_cvt_f32_i32 s1, s28
	v_cmp_gt_f64_e32 vcc_lo, 0x10000000, v[0:1]
	s_and_b32 s8, vcc_lo, exec_lo
	s_cselect_b32 s8, 0x100, 0
	s_delay_alu instid0(SALU_CYCLE_1) | instskip(SKIP_1) | instid1(VALU_DEP_1)
	v_ldexp_f64 v[0:1], v[0:1], s8
	s_cselect_b32 s8, 0xffffff80, 0
	v_rsq_f64_e32 v[2:3], v[0:1]
	v_cmp_class_f64_e64 vcc_lo, v[0:1], 0x260
	s_delay_alu instid0(TRANS32_DEP_1) | instskip(SKIP_1) | instid1(VALU_DEP_1)
	v_mul_f64_e32 v[4:5], v[0:1], v[2:3]
	v_mul_f64_e32 v[2:3], 0.5, v[2:3]
	v_fma_f64 v[6:7], -v[2:3], v[4:5], 0.5
	s_delay_alu instid0(VALU_DEP_1) | instskip(SKIP_1) | instid1(VALU_DEP_2)
	v_fmac_f64_e32 v[4:5], v[4:5], v[6:7]
	v_fmac_f64_e32 v[2:3], v[2:3], v[6:7]
	v_fma_f64 v[6:7], -v[4:5], v[4:5], v[0:1]
	s_delay_alu instid0(VALU_DEP_1) | instskip(NEXT) | instid1(VALU_DEP_1)
	v_fmac_f64_e32 v[4:5], v[6:7], v[2:3]
	v_fma_f64 v[6:7], -v[4:5], v[4:5], v[0:1]
	s_delay_alu instid0(VALU_DEP_1) | instskip(SKIP_1) | instid1(VALU_DEP_2)
	v_fmac_f64_e32 v[4:5], v[6:7], v[2:3]
	v_cndmask_b32_e64 v6, 0, 1, s22
	v_ldexp_f64 v[2:3], v[4:5], s8
	s_add_nc_u64 s[8:9], s[4:5], s[26:27]
	s_add_nc_u64 s[4:5], s[6:7], s[34:35]
	s_mov_b32 s26, 0
	s_mov_b32 s6, 0
	s_delay_alu instid0(VALU_DEP_1) | instskip(NEXT) | instid1(VALU_DEP_1)
	v_dual_cndmask_b32 v1, v3, v1 :: v_dual_cndmask_b32 v0, v2, v0
	v_cvt_f32_f64_e32 v1, v[0:1]
	s_delay_alu instid0(VALU_DEP_1) | instskip(SKIP_1) | instid1(VALU_DEP_2)
	v_div_scale_f32 v0, null, v1, v1, s0
	v_div_scale_f32 v4, vcc_lo, s0, v1, s0
	v_rcp_f32_e32 v2, v0
	v_nop
	v_xor_b32_e32 v0, 0x80000000, v0
	s_delay_alu instid0(TRANS32_DEP_1) | instid1(VALU_DEP_1)
	v_fma_f32 v3, v0, v2, 1.0
	s_delay_alu instid0(VALU_DEP_1) | instskip(NEXT) | instid1(VALU_DEP_1)
	v_fmac_f32_e32 v2, v3, v2
	v_mul_f32_e32 v3, v4, v2
	s_delay_alu instid0(VALU_DEP_1) | instskip(NEXT) | instid1(VALU_DEP_1)
	v_fma_f32 v5, v0, v3, v4
	v_fmac_f32_e32 v3, v5, v2
	s_delay_alu instid0(VALU_DEP_1) | instskip(NEXT) | instid1(VALU_DEP_1)
	v_dual_fmac_f32 v4, v0, v3 :: v_dual_mov_b32 v0, 0
	v_div_fmas_f32 v2, v4, v2, v3
	v_mov_b32_e32 v4, s23
	s_delay_alu instid0(VALU_DEP_2)
	v_div_fixup_f32 v1, v2, v1, s0
	s_mul_f32 s0, s29, s1
	s_delay_alu instid0(VALU_DEP_1) | instid1(SALU_CYCLE_3)
	v_cmp_gt_f32_e32 vcc_lo, s0, v1
	v_cndmask_b32_e64 v5, v1, s0, vcc_lo
	s_and_not1_b32 vcc_lo, exec_lo, s22
	global_store_b64 v0, v[4:5], s[4:5]
	s_cbranch_vccnz .LBB25_15
; %bb.4:
	s_mov_b32 s23, 0
	s_delay_alu instid0(SALU_CYCLE_1)
	s_mov_b32 s6, s23
	s_mov_b32 s22, s23
	s_branch .LBB25_7
.LBB25_5:                               ;   in Loop: Header=BB25_7 Depth=1
	s_mov_b32 s22, s0
.LBB25_6:                               ;   in Loop: Header=BB25_7 Depth=1
	s_wait_loadcnt 0x0
	v_and_b32_e32 v1, 0x7fffffff, v1
	s_wait_xcnt 0x0
	v_cmp_nlg_f32_e64 s0, 0x7f800000, v2
	s_delay_alu instid0(VALU_DEP_2) | instskip(SKIP_1) | instid1(SALU_CYCLE_1)
	v_cmp_nlg_f32_e32 vcc_lo, 0x7f800000, v1
	s_or_b32 s0, vcc_lo, s0
	s_or_b32 s26, s0, s26
	s_cmp_eq_u32 s22, s3
	s_cbranch_scc1 .LBB25_15
.LBB25_7:                               ; =>This Inner Loop Header: Depth=1
	s_lshl_b32 s0, s22, 2
	s_delay_alu instid0(SALU_CYCLE_1) | instskip(NEXT) | instid1(SALU_CYCLE_1)
	s_or_b32 s1, s0, 3
	s_cmp_ge_i32 s1, s25
	s_cbranch_scc1 .LBB25_9
; %bb.8:                                ;   in Loop: Header=BB25_7 Depth=1
	s_mov_b32 s1, s23
	v_dual_mov_b32 v1, v0 :: v_dual_mov_b32 v2, v0
	v_mov_b32_e32 v3, v0
	s_lshl_b64 s[0:1], s[0:1], 2
	s_delay_alu instid0(SALU_CYCLE_1)
	s_add_nc_u64 s[0:1], s[8:9], s[0:1]
	global_store_b128 v0, v[0:3], s[0:1]
	global_wb scope:SCOPE_DEV
	s_wait_storecnt 0x0
	global_inv scope:SCOPE_DEV
.LBB25_9:                               ;   in Loop: Header=BB25_7 Depth=1
	s_wait_xcnt 0x0
	v_mov_b32_e32 v2, s22
	s_mov_b32 s1, -1
                                        ; implicit-def: $sgpr0
	s_clause 0x1
	global_load_b32 v3, v2, s[20:21] scale_offset
	global_load_b32 v1, v2, s[18:19] scale_offset
	s_wait_loadcnt 0x1
	s_wait_xcnt 0x0
	v_and_b32_e32 v2, 0x7fffffff, v3
	s_delay_alu instid0(VALU_DEP_1)
	v_cmp_lt_f32_e32 vcc_lo, v2, v5
	s_cbranch_vccnz .LBB25_11
; %bb.10:                               ;   in Loop: Header=BB25_7 Depth=1
	s_add_co_i32 s0, s22, 1
	s_mov_b32 s1, 0
.LBB25_11:                              ;   in Loop: Header=BB25_7 Depth=1
	s_delay_alu instid0(SALU_CYCLE_1)
	s_and_not1_b32 vcc_lo, exec_lo, s1
	s_cbranch_vccnz .LBB25_5
; %bb.12:                               ;   in Loop: Header=BB25_7 Depth=1
	s_lshl_b64 s[0:1], s[22:23], 2
	s_cmp_ge_i32 s6, s22
	s_add_nc_u64 s[0:1], s[20:21], s[0:1]
	global_store_b32 v0, v0, s[0:1]
	s_cbranch_scc1 .LBB25_14
; %bb.13:                               ;   in Loop: Header=BB25_7 Depth=1
	s_mov_b32 s7, s22
	s_wait_xcnt 0x0
	s_lshl_b32 s0, s24, 2
	v_mov_b64_e32 v[8:9], s[6:7]
	s_ashr_i32 s1, s0, 31
	s_add_co_i32 s24, s24, 1
	s_lshl_b64 s[0:1], s[0:1], 2
	s_delay_alu instid0(SALU_CYCLE_1)
	s_add_nc_u64 s[0:1], s[8:9], s[0:1]
	global_store_b64 v0, v[8:9], s[0:1] offset:4
.LBB25_14:                              ;   in Loop: Header=BB25_7 Depth=1
	s_add_co_i32 s22, s22, 1
	s_delay_alu instid0(SALU_CYCLE_1)
	s_mov_b32 s6, s22
	s_branch .LBB25_6
.LBB25_15:
	v_mov_b32_e32 v1, 0
	s_cmp_lt_i32 s6, s3
	global_load_b32 v0, v1, s[12:13] offset:-4
	s_cbranch_scc0 .LBB25_17
; %bb.16:
	s_lshl_b32 s0, s24, 2
	v_dual_mov_b32 v2, s6 :: v_dual_mov_b32 v3, s3
	s_ashr_i32 s1, s0, 31
	s_delay_alu instid0(SALU_CYCLE_1) | instskip(NEXT) | instid1(SALU_CYCLE_1)
	s_lshl_b64 s[0:1], s[0:1], 2
	s_add_nc_u64 s[0:1], s[8:9], s[0:1]
	global_store_b64 v1, v[2:3], s[0:1] offset:4
.LBB25_17:
	s_wait_loadcnt 0x0
	v_and_b32_e32 v0, 0x7fffffff, v0
	s_delay_alu instid0(VALU_DEP_1) | instskip(SKIP_2) | instid1(SALU_CYCLE_1)
	v_cmp_nlg_f32_e32 vcc_lo, 0x7f800000, v0
	s_wait_xcnt 0x0
	s_or_b32 s0, vcc_lo, s26
	s_and_not1_b32 vcc_lo, exec_lo, s0
	s_mov_b32 s0, -1
	s_cbranch_vccz .LBB25_22
; %bb.18:
	s_add_co_i32 s1, s24, 1
	s_lshl_b64 s[6:7], s[14:15], 2
	s_cvt_f32_i32 s0, s1
	v_mov_b32_e32 v1, 0
	s_cmp_lt_i32 s24, 0
	s_add_nc_u64 s[6:7], s[16:17], s[6:7]
	v_mov_b32_e32 v0, s0
	s_mov_b32 s0, 0
	s_clause 0x1
	global_store_b64 v1, v[0:1], s[4:5] offset:8
	global_store_b32 v1, v1, s[6:7]
	s_cbranch_scc1 .LBB25_22
; %bb.19:
	v_mov_b32_e32 v3, 0
	s_wait_xcnt 0x1
	s_mov_b32 s4, 0
.LBB25_20:                              ; =>This Inner Loop Header: Depth=1
	v_mov_b32_e32 v2, s1
	s_wait_xcnt 0x0
	global_atomic_cmpswap_b32 v3, v1, v[2:3], s[10:11] offset:4 th:TH_ATOMIC_RETURN scope:SCOPE_DEV
	s_wait_loadcnt 0x0
	v_cmp_lt_i32_e32 vcc_lo, s24, v3
	s_or_b32 s4, vcc_lo, s4
	s_wait_xcnt 0x0
	s_and_not1_b32 exec_lo, exec_lo, s4
	s_cbranch_execnz .LBB25_20
; %bb.21:
	s_or_b32 exec_lo, exec_lo, s4
.LBB25_22:
	s_delay_alu instid0(SALU_CYCLE_1)
	s_and_not1_b32 vcc_lo, exec_lo, s0
	s_cbranch_vccnz .LBB25_28
; %bb.23:
	v_cmp_ne_u32_e32 vcc_lo, 1, v6
	s_cbranch_vccnz .LBB25_26
; %bb.24:
	s_wait_xcnt 0x0
	v_dual_mov_b32 v0, 0 :: v_dual_mov_b32 v1, 0x7fc00000
.LBB25_25:                              ; =>This Inner Loop Header: Depth=1
	s_add_co_i32 s3, s3, -1
	s_clause 0x1
	global_store_b32 v0, v1, s[18:19]
	global_store_b32 v0, v1, s[20:21]
	s_wait_xcnt 0x1
	s_add_nc_u64 s[18:19], s[18:19], 4
	s_cmp_eq_u32 s3, 0
	s_wait_xcnt 0x0
	s_add_nc_u64 s[20:21], s[20:21], 4
	s_cbranch_scc0 .LBB25_25
.LBB25_26:
	s_mov_b32 s0, exec_lo
	s_wait_xcnt 0x1
	v_dual_mov_b32 v0, 0 :: v_dual_mov_b32 v3, s2
	s_wait_xcnt 0x0
	v_mbcnt_lo_u32_b32 v1, s0, 0
	v_mov_b32_e32 v2, 0x7fc00000
	s_lshl_b64 s[4:5], s[14:15], 2
	v_mov_b32_e32 v4, 2
	s_add_nc_u64 s[6:7], s[16:17], s[4:5]
	s_add_nc_u64 s[2:3], s[10:11], s[4:5]
	s_clause 0x2
	global_store_b32 v0, v2, s[12:13] offset:-4
	global_store_b32 v0, v3, s[6:7]
	global_store_b32 v0, v4, s[2:3] offset:8
	s_mov_b32 s1, exec_lo
	s_wait_xcnt 0x0
	v_cmpx_eq_u32_e32 0, v1
	s_cbranch_execz .LBB25_28
; %bb.27:
	s_bcnt1_i32_b32 s0, s0
	s_delay_alu instid0(SALU_CYCLE_1)
	v_mov_b32_e32 v1, s0
	global_atomic_add_u32 v0, v1, s[10:11] scope:SCOPE_DEV
.LBB25_28:
	s_endpgm
	.section	.rodata,"a",@progbits
	.p2align	6, 0x0
	.amdhsa_kernel _ZN9rocsolver6v33100L10bdsqr_initI19rocblas_complex_numIfEfEEviPT0_lS5_lPiiS4_S4_S6_S5_lS6_
		.amdhsa_group_segment_fixed_size 0
		.amdhsa_private_segment_fixed_size 0
		.amdhsa_kernarg_size 96
		.amdhsa_user_sgpr_count 2
		.amdhsa_user_sgpr_dispatch_ptr 0
		.amdhsa_user_sgpr_queue_ptr 0
		.amdhsa_user_sgpr_kernarg_segment_ptr 1
		.amdhsa_user_sgpr_dispatch_id 0
		.amdhsa_user_sgpr_kernarg_preload_length 0
		.amdhsa_user_sgpr_kernarg_preload_offset 0
		.amdhsa_user_sgpr_private_segment_size 0
		.amdhsa_wavefront_size32 1
		.amdhsa_uses_dynamic_stack 0
		.amdhsa_enable_private_segment 0
		.amdhsa_system_sgpr_workgroup_id_x 1
		.amdhsa_system_sgpr_workgroup_id_y 1
		.amdhsa_system_sgpr_workgroup_id_z 0
		.amdhsa_system_sgpr_workgroup_info 0
		.amdhsa_system_vgpr_workitem_id 0
		.amdhsa_next_free_vgpr 10
		.amdhsa_next_free_sgpr 36
		.amdhsa_named_barrier_count 0
		.amdhsa_reserve_vcc 1
		.amdhsa_float_round_mode_32 0
		.amdhsa_float_round_mode_16_64 0
		.amdhsa_float_denorm_mode_32 3
		.amdhsa_float_denorm_mode_16_64 3
		.amdhsa_fp16_overflow 0
		.amdhsa_memory_ordered 1
		.amdhsa_forward_progress 1
		.amdhsa_inst_pref_size 13
		.amdhsa_round_robin_scheduling 0
		.amdhsa_exception_fp_ieee_invalid_op 0
		.amdhsa_exception_fp_denorm_src 0
		.amdhsa_exception_fp_ieee_div_zero 0
		.amdhsa_exception_fp_ieee_overflow 0
		.amdhsa_exception_fp_ieee_underflow 0
		.amdhsa_exception_fp_ieee_inexact 0
		.amdhsa_exception_int_div_zero 0
	.end_amdhsa_kernel
	.section	.text._ZN9rocsolver6v33100L10bdsqr_initI19rocblas_complex_numIfEfEEviPT0_lS5_lPiiS4_S4_S6_S5_lS6_,"axG",@progbits,_ZN9rocsolver6v33100L10bdsqr_initI19rocblas_complex_numIfEfEEviPT0_lS5_lPiiS4_S4_S6_S5_lS6_,comdat
.Lfunc_end25:
	.size	_ZN9rocsolver6v33100L10bdsqr_initI19rocblas_complex_numIfEfEEviPT0_lS5_lPiiS4_S4_S6_S5_lS6_, .Lfunc_end25-_ZN9rocsolver6v33100L10bdsqr_initI19rocblas_complex_numIfEfEEviPT0_lS5_lPiiS4_S4_S6_S5_lS6_
                                        ; -- End function
	.set _ZN9rocsolver6v33100L10bdsqr_initI19rocblas_complex_numIfEfEEviPT0_lS5_lPiiS4_S4_S6_S5_lS6_.num_vgpr, 10
	.set _ZN9rocsolver6v33100L10bdsqr_initI19rocblas_complex_numIfEfEEviPT0_lS5_lPiiS4_S4_S6_S5_lS6_.num_agpr, 0
	.set _ZN9rocsolver6v33100L10bdsqr_initI19rocblas_complex_numIfEfEEviPT0_lS5_lPiiS4_S4_S6_S5_lS6_.numbered_sgpr, 36
	.set _ZN9rocsolver6v33100L10bdsqr_initI19rocblas_complex_numIfEfEEviPT0_lS5_lPiiS4_S4_S6_S5_lS6_.num_named_barrier, 0
	.set _ZN9rocsolver6v33100L10bdsqr_initI19rocblas_complex_numIfEfEEviPT0_lS5_lPiiS4_S4_S6_S5_lS6_.private_seg_size, 0
	.set _ZN9rocsolver6v33100L10bdsqr_initI19rocblas_complex_numIfEfEEviPT0_lS5_lPiiS4_S4_S6_S5_lS6_.uses_vcc, 1
	.set _ZN9rocsolver6v33100L10bdsqr_initI19rocblas_complex_numIfEfEEviPT0_lS5_lPiiS4_S4_S6_S5_lS6_.uses_flat_scratch, 0
	.set _ZN9rocsolver6v33100L10bdsqr_initI19rocblas_complex_numIfEfEEviPT0_lS5_lPiiS4_S4_S6_S5_lS6_.has_dyn_sized_stack, 0
	.set _ZN9rocsolver6v33100L10bdsqr_initI19rocblas_complex_numIfEfEEviPT0_lS5_lPiiS4_S4_S6_S5_lS6_.has_recursion, 0
	.set _ZN9rocsolver6v33100L10bdsqr_initI19rocblas_complex_numIfEfEEviPT0_lS5_lPiiS4_S4_S6_S5_lS6_.has_indirect_call, 0
	.section	.AMDGPU.csdata,"",@progbits
; Kernel info:
; codeLenInByte = 1652
; TotalNumSgprs: 38
; NumVgprs: 10
; ScratchSize: 0
; MemoryBound: 0
; FloatMode: 240
; IeeeMode: 1
; LDSByteSize: 0 bytes/workgroup (compile time only)
; SGPRBlocks: 0
; VGPRBlocks: 0
; NumSGPRsForWavesPerEU: 38
; NumVGPRsForWavesPerEU: 10
; NamedBarCnt: 0
; Occupancy: 16
; WaveLimiterHint : 0
; COMPUTE_PGM_RSRC2:SCRATCH_EN: 0
; COMPUTE_PGM_RSRC2:USER_SGPR: 2
; COMPUTE_PGM_RSRC2:TRAP_HANDLER: 0
; COMPUTE_PGM_RSRC2:TGID_X_EN: 1
; COMPUTE_PGM_RSRC2:TGID_Y_EN: 1
; COMPUTE_PGM_RSRC2:TGID_Z_EN: 0
; COMPUTE_PGM_RSRC2:TIDIG_COMP_CNT: 0
	.section	.text._ZN9rocsolver6v33100L11swap_kernelI19rocblas_complex_numIfEiEEvT0_PT_S4_S6_S4_,"axG",@progbits,_ZN9rocsolver6v33100L11swap_kernelI19rocblas_complex_numIfEiEEvT0_PT_S4_S6_S4_,comdat
	.globl	_ZN9rocsolver6v33100L11swap_kernelI19rocblas_complex_numIfEiEEvT0_PT_S4_S6_S4_ ; -- Begin function _ZN9rocsolver6v33100L11swap_kernelI19rocblas_complex_numIfEiEEvT0_PT_S4_S6_S4_
	.p2align	8
	.type	_ZN9rocsolver6v33100L11swap_kernelI19rocblas_complex_numIfEiEEvT0_PT_S4_S6_S4_,@function
_ZN9rocsolver6v33100L11swap_kernelI19rocblas_complex_numIfEiEEvT0_PT_S4_S6_S4_: ; @_ZN9rocsolver6v33100L11swap_kernelI19rocblas_complex_numIfEiEEvT0_PT_S4_S6_S4_
; %bb.0:
	s_load_b32 s12, s[0:1], 0x0
	s_wait_kmcnt 0x0
	s_cmp_lt_i32 s12, 1
	s_cbranch_scc1 .LBB26_10
; %bb.1:
	s_clause 0x2
	s_load_b32 s2, s[0:1], 0x34
	s_load_b96 s[4:6], s[0:1], 0x8
	s_load_b96 s[8:10], s[0:1], 0x18
	s_bfe_u32 s3, ttmp6, 0x4000c
	s_wait_xcnt 0x0
	s_load_b32 s0, s[0:1], 0x28
	s_add_co_i32 s3, s3, 1
	s_wait_xcnt 0x0
	s_and_b32 s1, ttmp6, 15
	s_mul_i32 s3, ttmp9, s3
	s_getreg_b32 s7, hwreg(HW_REG_IB_STS2, 6, 4)
	s_add_co_i32 s1, s1, s3
	s_wait_kmcnt 0x0
	s_and_b32 s2, s2, 0xffff
	s_cmp_eq_u32 s7, 0
	s_cselect_b32 s1, ttmp9, s1
	s_cmp_eq_u32 s6, 1
	v_mad_u32 v0, s1, s2, v0
	s_cselect_b32 s1, -1, 0
	s_cmp_eq_u32 s10, 1
	s_mul_i32 s2, s0, s2
	s_cselect_b32 s3, -1, 0
	s_delay_alu instid0(SALU_CYCLE_1) | instskip(NEXT) | instid1(SALU_CYCLE_1)
	s_and_b32 s1, s1, s3
	s_and_b32 vcc_lo, exec_lo, s1
	s_mov_b32 s1, -1
	s_delay_alu instid0(VALU_DEP_1)
	v_cmp_gt_i32_e64 s0, s12, v0
	s_cbranch_vccnz .LBB26_6
; %bb.2:
	s_and_saveexec_b32 s1, s0
	s_cbranch_execz .LBB26_5
; %bb.3:
	v_ashrrev_i32_e32 v1, 31, v0
	s_ashr_i32 s7, s6, 31
	s_ashr_i32 s11, s10, 31
	s_ashr_i32 s3, s2, 31
	s_delay_alu instid0(SALU_CYCLE_1)
	s_mul_u64 s[14:15], s[6:7], s[2:3]
	v_mul_u64_e32 v[2:3], s[10:11], v[0:1]
	v_mul_u64_e32 v[4:5], s[6:7], v[0:1]
	v_mov_b32_e32 v1, v0
	s_mul_u64 s[10:11], s[10:11], s[2:3]
	s_mov_b32 s3, 0
	s_lshl_b64 s[6:7], s[10:11], 3
	s_lshl_b64 s[10:11], s[14:15], 3
	s_delay_alu instid0(VALU_DEP_3) | instskip(NEXT) | instid1(VALU_DEP_3)
	v_lshl_add_u64 v[2:3], v[2:3], 3, s[8:9]
	v_lshl_add_u64 v[4:5], v[4:5], 3, s[4:5]
.LBB26_4:                               ; =>This Inner Loop Header: Depth=1
	global_load_b64 v[6:7], v[4:5], off
	global_load_b64 v[8:9], v[2:3], off
	v_add_nc_u32_e32 v1, s2, v1
	s_wait_loadcnt 0x1
	global_store_b64 v[2:3], v[6:7], off
	s_wait_loadcnt 0x0
	global_store_b64 v[4:5], v[8:9], off
	v_cmp_le_i32_e32 vcc_lo, s12, v1
	s_wait_xcnt 0x1
	v_add_nc_u64_e32 v[2:3], s[6:7], v[2:3]
	s_wait_xcnt 0x0
	v_add_nc_u64_e32 v[4:5], s[10:11], v[4:5]
	s_or_b32 s3, vcc_lo, s3
	s_delay_alu instid0(SALU_CYCLE_1)
	s_and_not1_b32 exec_lo, exec_lo, s3
	s_cbranch_execnz .LBB26_4
.LBB26_5:
	s_or_b32 exec_lo, exec_lo, s1
	s_mov_b32 s1, 0
.LBB26_6:
	s_delay_alu instid0(SALU_CYCLE_1)
	s_and_not1_b32 vcc_lo, exec_lo, s1
	s_cbranch_vccnz .LBB26_10
; %bb.7:
	s_and_saveexec_b32 s1, s0
	s_cbranch_execz .LBB26_10
; %bb.8:
	v_ashrrev_i32_e32 v1, 31, v0
	s_ashr_i32 s3, s2, 31
	s_delay_alu instid0(SALU_CYCLE_1) | instskip(SKIP_1) | instid1(VALU_DEP_1)
	s_lshl_b64 s[0:1], s[2:3], 3
	s_mov_b32 s3, 0
	v_lshlrev_b64_e32 v[2:3], 3, v[0:1]
.LBB26_9:                               ; =>This Inner Loop Header: Depth=1
	s_delay_alu instid0(VALU_DEP_1)
	v_add_nc_u64_e32 v[4:5], s[4:5], v[2:3]
	v_add_nc_u64_e32 v[6:7], s[8:9], v[2:3]
	v_add_nc_u32_e32 v0, s2, v0
	v_add_nc_u64_e32 v[2:3], s[0:1], v[2:3]
	global_load_b64 v[8:9], v[4:5], off
	global_load_b64 v[10:11], v[6:7], off
	v_cmp_le_i32_e32 vcc_lo, s12, v0
	s_wait_loadcnt 0x1
	global_store_b64 v[6:7], v[8:9], off
	s_wait_loadcnt 0x0
	global_store_b64 v[4:5], v[10:11], off
	s_or_b32 s3, vcc_lo, s3
	s_wait_xcnt 0x0
	s_and_not1_b32 exec_lo, exec_lo, s3
	s_cbranch_execnz .LBB26_9
.LBB26_10:
	s_endpgm
	.section	.rodata,"a",@progbits
	.p2align	6, 0x0
	.amdhsa_kernel _ZN9rocsolver6v33100L11swap_kernelI19rocblas_complex_numIfEiEEvT0_PT_S4_S6_S4_
		.amdhsa_group_segment_fixed_size 0
		.amdhsa_private_segment_fixed_size 0
		.amdhsa_kernarg_size 296
		.amdhsa_user_sgpr_count 2
		.amdhsa_user_sgpr_dispatch_ptr 0
		.amdhsa_user_sgpr_queue_ptr 0
		.amdhsa_user_sgpr_kernarg_segment_ptr 1
		.amdhsa_user_sgpr_dispatch_id 0
		.amdhsa_user_sgpr_kernarg_preload_length 0
		.amdhsa_user_sgpr_kernarg_preload_offset 0
		.amdhsa_user_sgpr_private_segment_size 0
		.amdhsa_wavefront_size32 1
		.amdhsa_uses_dynamic_stack 0
		.amdhsa_enable_private_segment 0
		.amdhsa_system_sgpr_workgroup_id_x 1
		.amdhsa_system_sgpr_workgroup_id_y 0
		.amdhsa_system_sgpr_workgroup_id_z 0
		.amdhsa_system_sgpr_workgroup_info 0
		.amdhsa_system_vgpr_workitem_id 0
		.amdhsa_next_free_vgpr 12
		.amdhsa_next_free_sgpr 16
		.amdhsa_named_barrier_count 0
		.amdhsa_reserve_vcc 1
		.amdhsa_float_round_mode_32 0
		.amdhsa_float_round_mode_16_64 0
		.amdhsa_float_denorm_mode_32 3
		.amdhsa_float_denorm_mode_16_64 3
		.amdhsa_fp16_overflow 0
		.amdhsa_memory_ordered 1
		.amdhsa_forward_progress 1
		.amdhsa_inst_pref_size 4
		.amdhsa_round_robin_scheduling 0
		.amdhsa_exception_fp_ieee_invalid_op 0
		.amdhsa_exception_fp_denorm_src 0
		.amdhsa_exception_fp_ieee_div_zero 0
		.amdhsa_exception_fp_ieee_overflow 0
		.amdhsa_exception_fp_ieee_underflow 0
		.amdhsa_exception_fp_ieee_inexact 0
		.amdhsa_exception_int_div_zero 0
	.end_amdhsa_kernel
	.section	.text._ZN9rocsolver6v33100L11swap_kernelI19rocblas_complex_numIfEiEEvT0_PT_S4_S6_S4_,"axG",@progbits,_ZN9rocsolver6v33100L11swap_kernelI19rocblas_complex_numIfEiEEvT0_PT_S4_S6_S4_,comdat
.Lfunc_end26:
	.size	_ZN9rocsolver6v33100L11swap_kernelI19rocblas_complex_numIfEiEEvT0_PT_S4_S6_S4_, .Lfunc_end26-_ZN9rocsolver6v33100L11swap_kernelI19rocblas_complex_numIfEiEEvT0_PT_S4_S6_S4_
                                        ; -- End function
	.set _ZN9rocsolver6v33100L11swap_kernelI19rocblas_complex_numIfEiEEvT0_PT_S4_S6_S4_.num_vgpr, 12
	.set _ZN9rocsolver6v33100L11swap_kernelI19rocblas_complex_numIfEiEEvT0_PT_S4_S6_S4_.num_agpr, 0
	.set _ZN9rocsolver6v33100L11swap_kernelI19rocblas_complex_numIfEiEEvT0_PT_S4_S6_S4_.numbered_sgpr, 16
	.set _ZN9rocsolver6v33100L11swap_kernelI19rocblas_complex_numIfEiEEvT0_PT_S4_S6_S4_.num_named_barrier, 0
	.set _ZN9rocsolver6v33100L11swap_kernelI19rocblas_complex_numIfEiEEvT0_PT_S4_S6_S4_.private_seg_size, 0
	.set _ZN9rocsolver6v33100L11swap_kernelI19rocblas_complex_numIfEiEEvT0_PT_S4_S6_S4_.uses_vcc, 1
	.set _ZN9rocsolver6v33100L11swap_kernelI19rocblas_complex_numIfEiEEvT0_PT_S4_S6_S4_.uses_flat_scratch, 0
	.set _ZN9rocsolver6v33100L11swap_kernelI19rocblas_complex_numIfEiEEvT0_PT_S4_S6_S4_.has_dyn_sized_stack, 0
	.set _ZN9rocsolver6v33100L11swap_kernelI19rocblas_complex_numIfEiEEvT0_PT_S4_S6_S4_.has_recursion, 0
	.set _ZN9rocsolver6v33100L11swap_kernelI19rocblas_complex_numIfEiEEvT0_PT_S4_S6_S4_.has_indirect_call, 0
	.section	.AMDGPU.csdata,"",@progbits
; Kernel info:
; codeLenInByte = 500
; TotalNumSgprs: 18
; NumVgprs: 12
; ScratchSize: 0
; MemoryBound: 0
; FloatMode: 240
; IeeeMode: 1
; LDSByteSize: 0 bytes/workgroup (compile time only)
; SGPRBlocks: 0
; VGPRBlocks: 0
; NumSGPRsForWavesPerEU: 18
; NumVGPRsForWavesPerEU: 12
; NamedBarCnt: 0
; Occupancy: 16
; WaveLimiterHint : 0
; COMPUTE_PGM_RSRC2:SCRATCH_EN: 0
; COMPUTE_PGM_RSRC2:USER_SGPR: 2
; COMPUTE_PGM_RSRC2:TRAP_HANDLER: 0
; COMPUTE_PGM_RSRC2:TGID_X_EN: 1
; COMPUTE_PGM_RSRC2:TGID_Y_EN: 0
; COMPUTE_PGM_RSRC2:TGID_Z_EN: 0
; COMPUTE_PGM_RSRC2:TIDIG_COMP_CNT: 0
	.section	.text._ZN9rocsolver6v33100L10rot_kernelIf19rocblas_complex_numIfEiEEvT1_PT0_S4_S6_S4_T_S7_,"axG",@progbits,_ZN9rocsolver6v33100L10rot_kernelIf19rocblas_complex_numIfEiEEvT1_PT0_S4_S6_S4_T_S7_,comdat
	.globl	_ZN9rocsolver6v33100L10rot_kernelIf19rocblas_complex_numIfEiEEvT1_PT0_S4_S6_S4_T_S7_ ; -- Begin function _ZN9rocsolver6v33100L10rot_kernelIf19rocblas_complex_numIfEiEEvT1_PT0_S4_S6_S4_T_S7_
	.p2align	8
	.type	_ZN9rocsolver6v33100L10rot_kernelIf19rocblas_complex_numIfEiEEvT1_PT0_S4_S6_S4_T_S7_,@function
_ZN9rocsolver6v33100L10rot_kernelIf19rocblas_complex_numIfEiEEvT1_PT0_S4_S6_S4_T_S7_: ; @_ZN9rocsolver6v33100L10rot_kernelIf19rocblas_complex_numIfEiEEvT1_PT0_S4_S6_S4_T_S7_
; %bb.0:
	s_load_b32 s11, s[0:1], 0x0
	s_wait_kmcnt 0x0
	s_cmp_lt_i32 s11, 1
	s_cbranch_scc1 .LBB27_10
; %bb.1:
	s_clause 0x2
	s_load_b32 s2, s[0:1], 0x3c
	s_load_b96 s[4:6], s[0:1], 0x8
	s_load_b96 s[8:10], s[0:1], 0x20
	s_bfe_u32 s3, ttmp6, 0x4000c
	s_and_b32 s12, ttmp6, 15
	s_add_co_i32 s3, s3, 1
	s_load_b32 s7, s[0:1], 0x30
	s_mul_i32 s3, ttmp9, s3
	s_getreg_b32 s13, hwreg(HW_REG_IB_STS2, 6, 4)
	s_add_co_i32 s12, s12, s3
	s_wait_kmcnt 0x0
	s_and_b32 s14, s2, 0xffff
	s_cmp_eq_u32 s13, 0
	s_load_b64 s[2:3], s[0:1], 0x18
	s_wait_xcnt 0x0
	s_cselect_b32 s0, ttmp9, s12
	s_cmp_eq_u32 s6, 1
	v_mad_u32 v0, s0, s14, v0
	s_cselect_b32 s0, -1, 0
	s_cmp_eq_u32 s8, 1
	s_mul_i32 s12, s7, s14
	s_cselect_b32 s1, -1, 0
	s_delay_alu instid0(SALU_CYCLE_1) | instskip(NEXT) | instid1(SALU_CYCLE_1)
	s_and_b32 s1, s0, s1
	s_and_b32 vcc_lo, exec_lo, s1
	s_mov_b32 s1, -1
	s_delay_alu instid0(VALU_DEP_1)
	v_cmp_gt_i32_e64 s0, s11, v0
	s_cbranch_vccnz .LBB27_6
; %bb.2:
	s_and_saveexec_b32 s1, s0
	s_cbranch_execz .LBB27_5
; %bb.3:
	v_ashrrev_i32_e32 v1, 31, v0
	s_ashr_i32 s7, s6, 31
	s_ashr_i32 s15, s8, 31
	s_mov_b32 s14, s8
	s_mov_b32 s8, s9
	v_mul_u64_e32 v[6:7], s[14:15], v[0:1]
	v_mul_u64_e32 v[8:9], s[6:7], v[0:1]
	s_mov_b32 s16, s10
	s_mov_b32 s17, s10
	v_mov_b64_e32 v[4:5], s[8:9]
	v_mov_b64_e32 v[2:3], s[16:17]
	s_ashr_i32 s13, s12, 31
	v_mov_b32_e32 v1, v0
	s_mul_u64 s[14:15], s[14:15], s[12:13]
	s_mul_u64 s[18:19], s[6:7], s[12:13]
	s_lshl_b64 s[6:7], s[14:15], 3
	s_lshl_b64 s[14:15], s[18:19], 3
	s_mov_b32 s8, 0
	s_wait_kmcnt 0x0
	v_lshl_add_u64 v[6:7], v[6:7], 3, s[2:3]
	v_lshl_add_u64 v[8:9], v[8:9], 3, s[4:5]
.LBB27_4:                               ; =>This Inner Loop Header: Depth=1
	global_load_b64 v[10:11], v[8:9], off
	global_load_b64 v[12:13], v[6:7], off
	v_add_nc_u32_e32 v1, s12, v1
	s_delay_alu instid0(VALU_DEP_1)
	v_cmp_le_i32_e32 vcc_lo, s11, v1
	s_or_b32 s8, vcc_lo, s8
	s_wait_loadcnt 0x1
	v_pk_mul_f32 v[14:15], v[2:3], v[10:11]
	s_wait_loadcnt 0x0
	v_pk_mul_f32 v[16:17], v[2:3], v[12:13]
	s_delay_alu instid0(VALU_DEP_2) | instskip(NEXT) | instid1(VALU_DEP_2)
	v_pk_fma_f32 v[12:13], v[4:5], v[12:13], v[14:15] neg_lo:[0,0,1] neg_hi:[0,0,1]
	v_pk_fma_f32 v[10:11], v[4:5], v[10:11], v[16:17]
	global_store_b64 v[6:7], v[12:13], off
	global_store_b64 v[8:9], v[10:11], off
	s_wait_xcnt 0x1
	v_add_nc_u64_e32 v[6:7], s[6:7], v[6:7]
	s_wait_xcnt 0x0
	v_add_nc_u64_e32 v[8:9], s[14:15], v[8:9]
	s_and_not1_b32 exec_lo, exec_lo, s8
	s_cbranch_execnz .LBB27_4
.LBB27_5:
	s_or_b32 exec_lo, exec_lo, s1
	s_mov_b32 s1, 0
.LBB27_6:
	s_delay_alu instid0(SALU_CYCLE_1)
	s_and_not1_b32 vcc_lo, exec_lo, s1
	s_cbranch_vccnz .LBB27_10
; %bb.7:
	s_and_saveexec_b32 s1, s0
	s_cbranch_execz .LBB27_10
; %bb.8:
	v_ashrrev_i32_e32 v1, 31, v0
	s_mov_b32 s8, s9
	s_mov_b32 s0, s10
	;; [unrolled: 1-line block ×3, first 2 shown]
	v_mov_b64_e32 v[6:7], s[8:9]
	v_lshlrev_b64_e32 v[2:3], 3, v[0:1]
	v_mov_b64_e32 v[4:5], s[0:1]
	s_ashr_i32 s13, s12, 31
	s_mov_b32 s6, 0
	s_lshl_b64 s[0:1], s[12:13], 3
.LBB27_9:                               ; =>This Inner Loop Header: Depth=1
	s_delay_alu instid0(VALU_DEP_2)
	v_add_nc_u64_e32 v[8:9], s[4:5], v[2:3]
	s_wait_kmcnt 0x0
	v_add_nc_u64_e32 v[10:11], s[2:3], v[2:3]
	v_add_nc_u32_e32 v0, s12, v0
	v_add_nc_u64_e32 v[2:3], s[0:1], v[2:3]
	global_load_b64 v[12:13], v[8:9], off
	global_load_b64 v[14:15], v[10:11], off
	v_cmp_le_i32_e32 vcc_lo, s11, v0
	s_or_b32 s6, vcc_lo, s6
	s_wait_loadcnt 0x1
	v_pk_mul_f32 v[16:17], v[4:5], v[12:13]
	s_wait_loadcnt 0x0
	v_pk_mul_f32 v[18:19], v[4:5], v[14:15]
	s_delay_alu instid0(VALU_DEP_2) | instskip(NEXT) | instid1(VALU_DEP_2)
	v_pk_fma_f32 v[14:15], v[6:7], v[14:15], v[16:17] neg_lo:[0,0,1] neg_hi:[0,0,1]
	v_pk_fma_f32 v[12:13], v[6:7], v[12:13], v[18:19]
	global_store_b64 v[10:11], v[14:15], off
	global_store_b64 v[8:9], v[12:13], off
	s_wait_xcnt 0x0
	s_and_not1_b32 exec_lo, exec_lo, s6
	s_cbranch_execnz .LBB27_9
.LBB27_10:
	s_endpgm
	.section	.rodata,"a",@progbits
	.p2align	6, 0x0
	.amdhsa_kernel _ZN9rocsolver6v33100L10rot_kernelIf19rocblas_complex_numIfEiEEvT1_PT0_S4_S6_S4_T_S7_
		.amdhsa_group_segment_fixed_size 0
		.amdhsa_private_segment_fixed_size 0
		.amdhsa_kernarg_size 304
		.amdhsa_user_sgpr_count 2
		.amdhsa_user_sgpr_dispatch_ptr 0
		.amdhsa_user_sgpr_queue_ptr 0
		.amdhsa_user_sgpr_kernarg_segment_ptr 1
		.amdhsa_user_sgpr_dispatch_id 0
		.amdhsa_user_sgpr_kernarg_preload_length 0
		.amdhsa_user_sgpr_kernarg_preload_offset 0
		.amdhsa_user_sgpr_private_segment_size 0
		.amdhsa_wavefront_size32 1
		.amdhsa_uses_dynamic_stack 0
		.amdhsa_enable_private_segment 0
		.amdhsa_system_sgpr_workgroup_id_x 1
		.amdhsa_system_sgpr_workgroup_id_y 0
		.amdhsa_system_sgpr_workgroup_id_z 0
		.amdhsa_system_sgpr_workgroup_info 0
		.amdhsa_system_vgpr_workitem_id 0
		.amdhsa_next_free_vgpr 20
		.amdhsa_next_free_sgpr 20
		.amdhsa_named_barrier_count 0
		.amdhsa_reserve_vcc 1
		.amdhsa_float_round_mode_32 0
		.amdhsa_float_round_mode_16_64 0
		.amdhsa_float_denorm_mode_32 3
		.amdhsa_float_denorm_mode_16_64 3
		.amdhsa_fp16_overflow 0
		.amdhsa_memory_ordered 1
		.amdhsa_forward_progress 1
		.amdhsa_inst_pref_size 5
		.amdhsa_round_robin_scheduling 0
		.amdhsa_exception_fp_ieee_invalid_op 0
		.amdhsa_exception_fp_denorm_src 0
		.amdhsa_exception_fp_ieee_div_zero 0
		.amdhsa_exception_fp_ieee_overflow 0
		.amdhsa_exception_fp_ieee_underflow 0
		.amdhsa_exception_fp_ieee_inexact 0
		.amdhsa_exception_int_div_zero 0
	.end_amdhsa_kernel
	.section	.text._ZN9rocsolver6v33100L10rot_kernelIf19rocblas_complex_numIfEiEEvT1_PT0_S4_S6_S4_T_S7_,"axG",@progbits,_ZN9rocsolver6v33100L10rot_kernelIf19rocblas_complex_numIfEiEEvT1_PT0_S4_S6_S4_T_S7_,comdat
.Lfunc_end27:
	.size	_ZN9rocsolver6v33100L10rot_kernelIf19rocblas_complex_numIfEiEEvT1_PT0_S4_S6_S4_T_S7_, .Lfunc_end27-_ZN9rocsolver6v33100L10rot_kernelIf19rocblas_complex_numIfEiEEvT1_PT0_S4_S6_S4_T_S7_
                                        ; -- End function
	.set _ZN9rocsolver6v33100L10rot_kernelIf19rocblas_complex_numIfEiEEvT1_PT0_S4_S6_S4_T_S7_.num_vgpr, 20
	.set _ZN9rocsolver6v33100L10rot_kernelIf19rocblas_complex_numIfEiEEvT1_PT0_S4_S6_S4_T_S7_.num_agpr, 0
	.set _ZN9rocsolver6v33100L10rot_kernelIf19rocblas_complex_numIfEiEEvT1_PT0_S4_S6_S4_T_S7_.numbered_sgpr, 20
	.set _ZN9rocsolver6v33100L10rot_kernelIf19rocblas_complex_numIfEiEEvT1_PT0_S4_S6_S4_T_S7_.num_named_barrier, 0
	.set _ZN9rocsolver6v33100L10rot_kernelIf19rocblas_complex_numIfEiEEvT1_PT0_S4_S6_S4_T_S7_.private_seg_size, 0
	.set _ZN9rocsolver6v33100L10rot_kernelIf19rocblas_complex_numIfEiEEvT1_PT0_S4_S6_S4_T_S7_.uses_vcc, 1
	.set _ZN9rocsolver6v33100L10rot_kernelIf19rocblas_complex_numIfEiEEvT1_PT0_S4_S6_S4_T_S7_.uses_flat_scratch, 0
	.set _ZN9rocsolver6v33100L10rot_kernelIf19rocblas_complex_numIfEiEEvT1_PT0_S4_S6_S4_T_S7_.has_dyn_sized_stack, 0
	.set _ZN9rocsolver6v33100L10rot_kernelIf19rocblas_complex_numIfEiEEvT1_PT0_S4_S6_S4_T_S7_.has_recursion, 0
	.set _ZN9rocsolver6v33100L10rot_kernelIf19rocblas_complex_numIfEiEEvT1_PT0_S4_S6_S4_T_S7_.has_indirect_call, 0
	.section	.AMDGPU.csdata,"",@progbits
; Kernel info:
; codeLenInByte = 616
; TotalNumSgprs: 22
; NumVgprs: 20
; ScratchSize: 0
; MemoryBound: 0
; FloatMode: 240
; IeeeMode: 1
; LDSByteSize: 0 bytes/workgroup (compile time only)
; SGPRBlocks: 0
; VGPRBlocks: 1
; NumSGPRsForWavesPerEU: 22
; NumVGPRsForWavesPerEU: 20
; NamedBarCnt: 0
; Occupancy: 16
; WaveLimiterHint : 0
; COMPUTE_PGM_RSRC2:SCRATCH_EN: 0
; COMPUTE_PGM_RSRC2:USER_SGPR: 2
; COMPUTE_PGM_RSRC2:TRAP_HANDLER: 0
; COMPUTE_PGM_RSRC2:TGID_X_EN: 1
; COMPUTE_PGM_RSRC2:TGID_Y_EN: 0
; COMPUTE_PGM_RSRC2:TGID_Z_EN: 0
; COMPUTE_PGM_RSRC2:TIDIG_COMP_CNT: 0
	.section	.text._ZN9rocsolver6v33100L11lasr_kernelI19rocblas_complex_numIfEfPS3_iEEv13rocblas_side_14rocblas_pivot_15rocblas_direct_T2_S8_PT0_lSA_lT1_lS8_lS8_,"axG",@progbits,_ZN9rocsolver6v33100L11lasr_kernelI19rocblas_complex_numIfEfPS3_iEEv13rocblas_side_14rocblas_pivot_15rocblas_direct_T2_S8_PT0_lSA_lT1_lS8_lS8_,comdat
	.globl	_ZN9rocsolver6v33100L11lasr_kernelI19rocblas_complex_numIfEfPS3_iEEv13rocblas_side_14rocblas_pivot_15rocblas_direct_T2_S8_PT0_lSA_lT1_lS8_lS8_ ; -- Begin function _ZN9rocsolver6v33100L11lasr_kernelI19rocblas_complex_numIfEfPS3_iEEv13rocblas_side_14rocblas_pivot_15rocblas_direct_T2_S8_PT0_lSA_lT1_lS8_lS8_
	.p2align	8
	.type	_ZN9rocsolver6v33100L11lasr_kernelI19rocblas_complex_numIfEfPS3_iEEv13rocblas_side_14rocblas_pivot_15rocblas_direct_T2_S8_PT0_lSA_lT1_lS8_lS8_,@function
_ZN9rocsolver6v33100L11lasr_kernelI19rocblas_complex_numIfEfPS3_iEEv13rocblas_side_14rocblas_pivot_15rocblas_direct_T2_S8_PT0_lSA_lT1_lS8_lS8_: ; @_ZN9rocsolver6v33100L11lasr_kernelI19rocblas_complex_numIfEfPS3_iEEv13rocblas_side_14rocblas_pivot_15rocblas_direct_T2_S8_PT0_lSA_lT1_lS8_lS8_
; %bb.0:
	s_load_b32 s33, s[0:1], 0x58
	s_bfe_u32 s2, ttmp6, 0x40014
	s_lshr_b32 s3, ttmp7, 16
	s_add_co_i32 s2, s2, 1
	s_bfe_u32 s5, ttmp6, 0x40008
	s_mul_i32 s2, s3, s2
	s_getreg_b32 s4, hwreg(HW_REG_IB_STS2, 6, 4)
	s_add_co_i32 s5, s5, s2
	s_cmp_eq_u32 s4, 0
	s_cselect_b32 s2, s3, s5
	s_mov_b32 s3, 0
	s_wait_kmcnt 0x0
	s_cmp_ge_u32 s2, s33
	s_cbranch_scc1 .LBB28_108
; %bb.1:
	s_clause 0x3
	s_load_b32 s20, s[0:1], 0x48
	s_load_b64 s[22:23], s[0:1], 0x68
	s_load_b128 s[16:19], s[0:1], 0x38
	s_load_b128 s[12:15], s[0:1], 0x0
	s_bfe_u32 s5, ttmp6, 0x4000c
	s_and_b32 s6, ttmp6, 15
	s_add_co_i32 s5, s5, 1
	s_load_b32 s24, s[0:1], 0x60
	s_mul_i32 s5, ttmp9, s5
	s_mov_b32 s37, s3
	s_add_co_i32 s6, s6, s5
	s_mov_b32 s49, s3
	s_wait_kmcnt 0x0
	s_ashr_i32 s21, s20, 31
	s_and_b32 s25, s23, 0xffff
	s_cmp_eq_u32 s4, 0
	s_load_b32 s23, s[0:1], 0x10
	s_cselect_b32 s26, ttmp9, s6
	s_lshl_b64 s[46:47], s[18:19], 3
	v_mad_u32 v0, s26, s25, v0
	s_cmp_eq_u32 s12, 0x8d
	s_load_b64 s[18:19], s[0:1], 0x50
	s_cselect_b32 s27, -1, 0
	s_cmp_eq_u32 s12, 0x8e
	s_load_b256 s[4:11], s[0:1], 0x18
	s_cselect_b32 s28, -1, 0
	s_cmp_eq_u32 s13, 0x119
	s_mul_i32 s12, s24, s25
	s_cselect_b32 s29, -1, 0
	s_cmp_eq_u32 s13, 0x11b
	v_ashrrev_i32_e32 v1, 31, v0
	s_wait_xcnt 0x0
	s_cselect_b32 s0, -1, 0
	s_cmp_eq_u32 s13, 0x11a
	s_add_nc_u64 s[24:25], s[16:17], s[46:47]
	s_cselect_b32 s1, -1, 0
	v_mul_u64_e32 v[10:11], s[20:21], v[0:1]
	s_cmp_eq_u32 s14, 0xab
	v_lshlrev_b64_e32 v[8:9], 3, v[0:1]
	s_cselect_b32 s13, -1, 0
	s_cmp_eq_u32 s14, 0xac
	v_mov_b32_e32 v1, 0
	s_cselect_b32 s26, -1, 0
	s_and_b32 s14, s27, s29
	s_and_b32 s30, s27, s1
	;; [unrolled: 1-line block ×5, first 2 shown]
	s_xor_b32 s14, s31, -1
	s_and_b32 s31, s27, s13
	s_and_b32 s29, s28, s29
	s_and_b32 s27, s27, s26
	s_and_b32 s35, s30, s13
	s_xor_b32 s80, s27, -1
	s_and_b32 s27, s29, s26
	s_and_b32 s30, s30, s26
	s_xor_b32 s82, s27, -1
	s_and_b32 s27, s28, s0
	v_cmp_gt_i32_e64 s0, s15, v0
	s_and_b32 s1, s28, s1
	s_xor_b32 s78, s30, -1
	s_and_b32 s30, s29, s13
	s_and_b32 s29, s1, s13
	;; [unrolled: 1-line block ×4, first 2 shown]
	s_xor_b32 s84, s1, -1
	s_and_b32 s1, s26, s0
	s_wait_kmcnt 0x0
	s_add_co_i32 s26, s23, -1
	s_xor_b32 s76, s34, -1
	s_xor_b32 s77, s35, -1
	;; [unrolled: 1-line block ×6, first 2 shown]
	s_and_b32 s86, s27, s1
	s_ashr_i32 s27, s26, 31
	s_add_co_i32 s36, s23, -2
	s_cmp_gt_i32 s23, 1
	s_mul_u64 s[28:29], s[20:21], s[26:27]
	s_mov_b32 s27, s3
	s_cselect_b32 s87, -1, 0
	s_ashr_i32 s31, s15, 31
	s_add_co_i32 s48, s15, -2
	s_cmp_gt_i32 s15, 1
	s_mul_u64 s[50:51], s[20:21], s[26:27]
	s_cselect_b32 s88, -1, 0
	s_lshl_b64 s[38:39], s[36:37], 2
	s_mul_u64 s[36:37], s[20:21], s[36:37]
	s_lshl_b64 s[50:51], s[50:51], 3
	s_lshl_b64 s[36:37], s[36:37], 3
	;; [unrolled: 1-line block ×3, first 2 shown]
	s_add_nc_u64 s[50:51], s[50:51], s[46:47]
	s_add_nc_u64 s[40:41], s[36:37], s[46:47]
	;; [unrolled: 1-line block ×4, first 2 shown]
	v_lshl_add_u64 v[14:15], v[10:11], 3, s[46:47]
	s_add_nc_u64 s[34:35], s[4:5], s[38:39]
	s_add_nc_u64 s[36:37], s[8:9], s[38:39]
	;; [unrolled: 1-line block ×4, first 2 shown]
	v_add_nc_u64_e32 v[6:7], s[50:51], v[8:9]
	s_lshl_b64 s[50:51], s[48:49], 3
	v_add_nc_u64_e32 v[2:3], s[38:39], v[8:9]
	v_add_nc_u64_e32 v[4:5], s[24:25], v[8:9]
	;; [unrolled: 1-line block ×3, first 2 shown]
	s_lshl_b64 s[52:53], s[48:49], 2
	s_add_nc_u64 s[48:49], s[16:17], s[50:51]
	v_add_nc_u64_e32 v[10:11], s[16:17], v[14:15]
	v_add_nc_u64_e32 v[12:13], s[48:49], v[14:15]
	s_add_co_i32 s46, s15, -1
	s_mov_b32 s47, s3
	s_ashr_i32 s13, s12, 31
	s_lshl_b64 s[50:51], s[46:47], 3
	v_cmp_gt_i32_e64 s1, s23, v0
	s_add_nc_u64 s[16:17], s[16:17], s[50:51]
	v_add_nc_u64_e32 v[16:17], 8, v[10:11]
	v_add_nc_u64_e32 v[14:15], s[16:17], v[14:15]
	;; [unrolled: 1-line block ×3, first 2 shown]
	s_mul_u64 s[50:51], s[20:21], s[12:13]
	s_mov_b32 s30, s15
	s_lshl_b64 s[6:7], s[6:7], 2
	s_lshl_b64 s[10:11], s[10:11], 2
	;; [unrolled: 1-line block ×4, first 2 shown]
	s_sub_nc_u64 s[44:45], 0, s[42:43]
	s_add_co_i32 s27, s23, 1
	s_add_nc_u64 s[48:49], s[4:5], s[52:53]
	s_add_nc_u64 s[16:17], s[8:9], s[52:53]
	s_lshl_b64 s[50:51], s[50:51], 3
	s_add_co_i32 s13, s15, 1
	s_branch .LBB28_4
.LBB28_2:                               ;   in Loop: Header=BB28_4 Depth=1
	s_or_b32 exec_lo, exec_lo, s47
.LBB28_3:                               ;   in Loop: Header=BB28_4 Depth=1
	s_add_co_i32 s2, s2, s22
	s_delay_alu instid0(SALU_CYCLE_1)
	s_cmp_ge_u32 s2, s33
	s_cbranch_scc1 .LBB28_108
.LBB28_4:                               ; =>This Loop Header: Depth=1
                                        ;     Child Loop BB28_19 Depth 2
                                        ;       Child Loop BB28_20 Depth 3
                                        ;     Child Loop BB28_26 Depth 2
                                        ;       Child Loop BB28_27 Depth 3
	;; [unrolled: 2-line block ×12, first 2 shown]
	s_mul_u64 s[62:63], s[38:39], s[2:3]
	s_mul_u64 s[54:55], s[18:19], s[2:3]
	v_add_nc_u64_e32 v[20:21], s[62:63], v[16:17]
	s_mul_u64 s[64:65], s[6:7], s[2:3]
	s_mul_u64 s[66:67], s[10:11], s[2:3]
	s_lshl_b64 s[56:57], s[54:55], 3
	s_add_nc_u64 s[52:53], s[4:5], s[64:65]
	s_add_nc_u64 s[54:55], s[8:9], s[66:67]
	;; [unrolled: 1-line block ×3, first 2 shown]
	s_and_b32 vcc_lo, exec_lo, s14
	s_mov_b32 s47, -1
	s_cbranch_vccnz .LBB28_6
; %bb.5:                                ;   in Loop: Header=BB28_4 Depth=1
	s_and_not1_b32 vcc_lo, exec_lo, s47
	s_cbranch_vccnz .LBB28_3
	s_branch .LBB28_103
.LBB28_6:                               ;   in Loop: Header=BB28_4 Depth=1
	s_add_nc_u64 s[58:59], s[48:49], s[64:65]
	s_add_nc_u64 s[60:61], s[16:17], s[66:67]
	s_and_b32 vcc_lo, exec_lo, s76
	s_cbranch_vccz .LBB28_95
; %bb.7:                                ;   in Loop: Header=BB28_4 Depth=1
	s_and_b32 vcc_lo, exec_lo, s77
	s_cbranch_vccz .LBB28_87
; %bb.8:                                ;   in Loop: Header=BB28_4 Depth=1
	;; [unrolled: 3-line block ×3, first 2 shown]
	s_and_b32 vcc_lo, exec_lo, s79
	s_cbranch_vccz .LBB28_71
; %bb.10:                               ;   in Loop: Header=BB28_4 Depth=1
	s_and_b32 vcc_lo, exec_lo, s80
	s_cbranch_vccz .LBB28_63
; %bb.11:                               ;   in Loop: Header=BB28_4 Depth=1
	v_add_nc_u64_e32 v[22:23], s[62:63], v[4:5]
	s_and_b32 vcc_lo, exec_lo, s81
	s_cbranch_vccz .LBB28_55
; %bb.12:                               ;   in Loop: Header=BB28_4 Depth=1
	v_add_nc_u64_e32 v[24:25], s[62:63], v[6:7]
	v_add_nc_u64_e32 v[26:27], s[62:63], v[2:3]
	s_add_nc_u64 s[64:65], s[34:35], s[64:65]
	s_add_nc_u64 s[66:67], s[36:37], s[66:67]
	s_and_b32 vcc_lo, exec_lo, s82
	s_cbranch_vccz .LBB28_46
; %bb.13:                               ;   in Loop: Header=BB28_4 Depth=1
	s_and_b32 vcc_lo, exec_lo, s83
	s_cbranch_vccz .LBB28_38
; %bb.14:                               ;   in Loop: Header=BB28_4 Depth=1
	;; [unrolled: 3-line block ×4, first 2 shown]
	s_and_saveexec_b32 s47, s86
	s_cbranch_execz .LBB28_21
; %bb.17:                               ;   in Loop: Header=BB28_4 Depth=1
	v_mov_b64_e32 v[28:29], v[26:27]
	v_mov_b32_e32 v30, v0
	s_lshl_b64 s[68:69], s[28:29], 3
	s_mov_b32 s74, 0
	s_add_nc_u64 s[68:69], s[56:57], s[68:69]
	s_branch .LBB28_19
.LBB28_18:                              ;   in Loop: Header=BB28_19 Depth=2
	v_ashrrev_i32_e32 v31, 31, v30
	v_add_nc_u64_e32 v[28:29], s[40:41], v[28:29]
	s_delay_alu instid0(VALU_DEP_2)
	v_lshl_add_u64 v[34:35], v[30:31], 3, s[68:69]
	s_wait_xcnt 0x0
	v_add_nc_u32_e32 v30, s12, v30
	s_wait_loadcnt 0x0
	global_store_b64 v[34:35], v[32:33], off
	v_cmp_le_i32_e32 vcc_lo, s15, v30
	s_or_b32 s74, vcc_lo, s74
	s_wait_xcnt 0x0
	s_and_not1_b32 exec_lo, exec_lo, s74
	s_cbranch_execz .LBB28_21
.LBB28_19:                              ;   Parent Loop BB28_4 Depth=1
                                        ; =>  This Loop Header: Depth=2
                                        ;       Child Loop BB28_20 Depth 3
	global_load_b64 v[32:33], v30, s[68:69] scale_offset
	v_mov_b64_e32 v[34:35], v[28:29]
	s_and_not1_b32 vcc_lo, exec_lo, s87
	s_mov_b64 s[70:71], s[66:67]
	s_mov_b64 s[72:73], s[64:65]
	s_mov_b32 s75, s26
	s_cbranch_vccnz .LBB28_18
.LBB28_20:                              ;   Parent Loop BB28_4 Depth=1
                                        ;     Parent Loop BB28_19 Depth=2
                                        ; =>    This Inner Loop Header: Depth=3
	global_load_b64 v[36:37], v[34:35], off
	s_clause 0x1
	global_load_b32 v38, v1, s[72:73]
	global_load_b32 v40, v1, s[70:71]
	s_add_co_i32 s75, s75, -1
	s_wait_xcnt 0x1
	s_add_nc_u64 s[72:73], s[72:73], -4
	s_cmp_eq_u32 s75, 0
	s_wait_xcnt 0x0
	s_add_nc_u64 s[70:71], s[70:71], -4
	s_wait_loadcnt 0x1
	v_pk_mul_f32 v[42:43], v[38:39], v[36:37] op_sel_hi:[0,1]
	s_wait_loadcnt 0x0
	v_pk_mul_f32 v[36:37], v[40:41], v[36:37] op_sel_hi:[0,1]
	s_delay_alu instid0(VALU_DEP_2) | instskip(NEXT) | instid1(VALU_DEP_2)
	v_pk_fma_f32 v[42:43], v[32:33], v[40:41], v[42:43] op_sel_hi:[1,0,1]
	v_pk_fma_f32 v[32:33], v[32:33], v[38:39], v[36:37] op_sel_hi:[1,0,1] neg_lo:[0,0,1] neg_hi:[0,0,1]
	global_store_b64 v[34:35], v[42:43], off
	s_wait_xcnt 0x0
	v_add_nc_u64_e32 v[34:35], s[44:45], v[34:35]
	s_cbranch_scc0 .LBB28_20
	s_branch .LBB28_18
.LBB28_21:                              ;   in Loop: Header=BB28_4 Depth=1
	s_or_b32 exec_lo, exec_lo, s47
	s_mov_b32 s47, 0
.LBB28_22:                              ;   in Loop: Header=BB28_4 Depth=1
	s_delay_alu instid0(SALU_CYCLE_1)
	s_and_not1_b32 vcc_lo, exec_lo, s47
	s_cbranch_vccnz .LBB28_29
; %bb.23:                               ;   in Loop: Header=BB28_4 Depth=1
	s_and_saveexec_b32 s47, s0
	s_cbranch_execz .LBB28_28
; %bb.24:                               ;   in Loop: Header=BB28_4 Depth=1
	v_mov_b64_e32 v[28:29], v[22:23]
	v_mov_b32_e32 v30, v0
	s_lshl_b64 s[68:69], s[28:29], 3
	s_mov_b32 s74, 0
	s_add_nc_u64 s[68:69], s[56:57], s[68:69]
	s_branch .LBB28_26
.LBB28_25:                              ;   in Loop: Header=BB28_26 Depth=2
	v_ashrrev_i32_e32 v31, 31, v30
	v_add_nc_u64_e32 v[28:29], s[40:41], v[28:29]
	s_delay_alu instid0(VALU_DEP_2)
	v_lshl_add_u64 v[34:35], v[30:31], 3, s[68:69]
	s_wait_xcnt 0x0
	v_add_nc_u32_e32 v30, s12, v30
	s_wait_loadcnt 0x0
	global_store_b64 v[34:35], v[32:33], off
	v_cmp_le_i32_e32 vcc_lo, s15, v30
	s_or_b32 s74, vcc_lo, s74
	s_wait_xcnt 0x0
	s_and_not1_b32 exec_lo, exec_lo, s74
	s_cbranch_execz .LBB28_28
.LBB28_26:                              ;   Parent Loop BB28_4 Depth=1
                                        ; =>  This Loop Header: Depth=2
                                        ;       Child Loop BB28_27 Depth 3
	global_load_b64 v[32:33], v30, s[68:69] scale_offset
	v_mov_b64_e32 v[34:35], v[28:29]
	s_and_not1_b32 vcc_lo, exec_lo, s87
	s_mov_b64 s[70:71], s[54:55]
	s_mov_b64 s[72:73], s[52:53]
	s_mov_b32 s75, s26
	s_cbranch_vccnz .LBB28_25
.LBB28_27:                              ;   Parent Loop BB28_4 Depth=1
                                        ;     Parent Loop BB28_26 Depth=2
                                        ; =>    This Inner Loop Header: Depth=3
	global_load_b64 v[36:37], v[34:35], off
	s_clause 0x1
	global_load_b32 v38, v1, s[72:73]
	global_load_b32 v40, v1, s[70:71]
	s_add_co_i32 s75, s75, -1
	s_wait_xcnt 0x1
	s_add_nc_u64 s[72:73], s[72:73], 4
	s_cmp_eq_u32 s75, 0
	s_wait_xcnt 0x0
	s_add_nc_u64 s[70:71], s[70:71], 4
	s_wait_loadcnt 0x1
	v_pk_mul_f32 v[42:43], v[38:39], v[36:37] op_sel_hi:[0,1]
	s_wait_loadcnt 0x0
	v_pk_mul_f32 v[36:37], v[40:41], v[36:37] op_sel_hi:[0,1]
	s_delay_alu instid0(VALU_DEP_2) | instskip(NEXT) | instid1(VALU_DEP_2)
	v_pk_fma_f32 v[42:43], v[32:33], v[40:41], v[42:43] op_sel_hi:[1,0,1]
	v_pk_fma_f32 v[32:33], v[32:33], v[38:39], v[36:37] op_sel_hi:[1,0,1] neg_lo:[0,0,1] neg_hi:[0,0,1]
	global_store_b64 v[34:35], v[42:43], off
	s_wait_xcnt 0x0
	v_add_nc_u64_e32 v[34:35], s[42:43], v[34:35]
	s_cbranch_scc0 .LBB28_27
	s_branch .LBB28_25
.LBB28_28:                              ;   in Loop: Header=BB28_4 Depth=1
	s_or_b32 exec_lo, exec_lo, s47
.LBB28_29:                              ;   in Loop: Header=BB28_4 Depth=1
	s_mov_b32 s47, 0
.LBB28_30:                              ;   in Loop: Header=BB28_4 Depth=1
	s_delay_alu instid0(SALU_CYCLE_1)
	s_and_not1_b32 vcc_lo, exec_lo, s47
	s_cbranch_vccnz .LBB28_37
; %bb.31:                               ;   in Loop: Header=BB28_4 Depth=1
	s_and_saveexec_b32 s47, s0
	s_cbranch_execz .LBB28_36
; %bb.32:                               ;   in Loop: Header=BB28_4 Depth=1
	v_mov_b64_e32 v[28:29], v[24:25]
	v_mov_b32_e32 v30, v0
	s_mov_b32 s72, 0
	s_branch .LBB28_34
.LBB28_33:                              ;   in Loop: Header=BB28_34 Depth=2
	v_ashrrev_i32_e32 v31, 31, v30
	v_add_nc_u64_e32 v[28:29], s[40:41], v[28:29]
	s_delay_alu instid0(VALU_DEP_2)
	v_lshl_add_u64 v[34:35], v[30:31], 3, s[56:57]
	s_wait_xcnt 0x0
	v_add_nc_u32_e32 v30, s12, v30
	s_wait_loadcnt 0x0
	global_store_b64 v[34:35], v[32:33], off
	v_cmp_le_i32_e32 vcc_lo, s15, v30
	s_or_b32 s72, vcc_lo, s72
	s_wait_xcnt 0x0
	s_and_not1_b32 exec_lo, exec_lo, s72
	s_cbranch_execz .LBB28_36
.LBB28_34:                              ;   Parent Loop BB28_4 Depth=1
                                        ; =>  This Loop Header: Depth=2
                                        ;       Child Loop BB28_35 Depth 3
	global_load_b64 v[32:33], v30, s[56:57] scale_offset
	v_mov_b64_e32 v[34:35], v[28:29]
	s_and_not1_b32 vcc_lo, exec_lo, s87
	s_mov_b64 s[68:69], s[66:67]
	s_mov_b64 s[70:71], s[64:65]
	s_mov_b32 s73, s27
	s_cbranch_vccnz .LBB28_33
.LBB28_35:                              ;   Parent Loop BB28_4 Depth=1
                                        ;     Parent Loop BB28_34 Depth=2
                                        ; =>    This Inner Loop Header: Depth=3
	s_clause 0x1
	global_load_b32 v36, v1, s[68:69]
	global_load_b32 v38, v1, s[70:71]
	global_load_b64 v[40:41], v[34:35], off
	s_add_co_i32 s73, s73, -1
	s_wait_xcnt 0x1
	s_add_nc_u64 s[70:71], s[70:71], -4
	s_cmp_lt_u32 s73, 3
	s_add_nc_u64 s[68:69], s[68:69], -4
	s_wait_loadcnt 0x2
	v_pk_mul_f32 v[42:43], v[32:33], v[36:37] op_sel_hi:[1,0]
	s_wait_loadcnt 0x0
	v_pk_mul_f32 v[36:37], v[36:37], v[40:41] op_sel_hi:[0,1]
	s_delay_alu instid0(VALU_DEP_2) | instskip(NEXT) | instid1(VALU_DEP_2)
	v_pk_fma_f32 v[42:43], v[38:39], v[40:41], v[42:43] op_sel_hi:[0,1,1] neg_lo:[0,0,1] neg_hi:[0,0,1]
	v_pk_fma_f32 v[32:33], v[32:33], v[38:39], v[36:37] op_sel_hi:[1,0,1]
	global_store_b64 v[34:35], v[42:43], off
	s_wait_xcnt 0x0
	v_add_nc_u64_e32 v[34:35], s[44:45], v[34:35]
	s_cbranch_scc0 .LBB28_35
	s_branch .LBB28_33
.LBB28_36:                              ;   in Loop: Header=BB28_4 Depth=1
	s_or_b32 exec_lo, exec_lo, s47
.LBB28_37:                              ;   in Loop: Header=BB28_4 Depth=1
	s_mov_b32 s47, 0
.LBB28_38:                              ;   in Loop: Header=BB28_4 Depth=1
	s_delay_alu instid0(SALU_CYCLE_1)
	s_and_not1_b32 vcc_lo, exec_lo, s47
	s_cbranch_vccnz .LBB28_45
; %bb.39:                               ;   in Loop: Header=BB28_4 Depth=1
	s_and_saveexec_b32 s47, s0
	s_cbranch_execz .LBB28_44
; %bb.40:                               ;   in Loop: Header=BB28_4 Depth=1
	v_add_nc_u64_e32 v[28:29], s[62:63], v[8:9]
	v_mov_b32_e32 v30, v0
	s_mov_b32 s72, 0
	s_branch .LBB28_42
.LBB28_41:                              ;   in Loop: Header=BB28_42 Depth=2
	v_ashrrev_i32_e32 v31, 31, v30
	v_add_nc_u64_e32 v[28:29], s[40:41], v[28:29]
	s_delay_alu instid0(VALU_DEP_2)
	v_lshl_add_u64 v[34:35], v[30:31], 3, s[56:57]
	s_wait_xcnt 0x0
	v_add_nc_u32_e32 v30, s12, v30
	s_wait_loadcnt 0x0
	global_store_b64 v[34:35], v[32:33], off
	v_cmp_le_i32_e32 vcc_lo, s15, v30
	s_or_b32 s72, vcc_lo, s72
	s_wait_xcnt 0x0
	s_and_not1_b32 exec_lo, exec_lo, s72
	s_cbranch_execz .LBB28_44
.LBB28_42:                              ;   Parent Loop BB28_4 Depth=1
                                        ; =>  This Loop Header: Depth=2
                                        ;       Child Loop BB28_43 Depth 3
	global_load_b64 v[32:33], v30, s[56:57] scale_offset
	v_mov_b64_e32 v[34:35], v[28:29]
	s_and_not1_b32 vcc_lo, exec_lo, s87
	s_mov_b32 s73, s26
	s_mov_b64 s[68:69], s[52:53]
	s_mov_b64 s[70:71], s[54:55]
	s_cbranch_vccnz .LBB28_41
.LBB28_43:                              ;   Parent Loop BB28_4 Depth=1
                                        ;     Parent Loop BB28_42 Depth=2
                                        ; =>    This Inner Loop Header: Depth=3
	s_clause 0x1
	global_load_b32 v36, v1, s[70:71]
	global_load_b32 v38, v1, s[68:69]
	global_load_b64 v[40:41], v[34:35], off
	s_add_co_i32 s73, s73, -1
	s_wait_xcnt 0x2
	s_add_nc_u64 s[70:71], s[70:71], 4
	s_cmp_eq_u32 s73, 0
	s_wait_xcnt 0x1
	s_add_nc_u64 s[68:69], s[68:69], 4
	s_wait_loadcnt 0x2
	v_pk_mul_f32 v[42:43], v[32:33], v[36:37] op_sel_hi:[1,0]
	s_wait_loadcnt 0x0
	v_pk_mul_f32 v[36:37], v[36:37], v[40:41] op_sel_hi:[0,1]
	s_delay_alu instid0(VALU_DEP_2) | instskip(NEXT) | instid1(VALU_DEP_2)
	v_pk_fma_f32 v[42:43], v[38:39], v[40:41], v[42:43] op_sel_hi:[0,1,1] neg_lo:[0,0,1] neg_hi:[0,0,1]
	v_pk_fma_f32 v[32:33], v[32:33], v[38:39], v[36:37] op_sel_hi:[1,0,1]
	global_store_b64 v[34:35], v[42:43], off
	s_wait_xcnt 0x0
	v_add_nc_u64_e32 v[34:35], s[42:43], v[34:35]
	s_cbranch_scc0 .LBB28_43
	s_branch .LBB28_41
.LBB28_44:                              ;   in Loop: Header=BB28_4 Depth=1
	s_or_b32 exec_lo, exec_lo, s47
.LBB28_45:                              ;   in Loop: Header=BB28_4 Depth=1
	s_mov_b32 s47, 0
.LBB28_46:                              ;   in Loop: Header=BB28_4 Depth=1
	s_delay_alu instid0(SALU_CYCLE_1)
	s_and_not1_b32 vcc_lo, exec_lo, s47
	s_cbranch_vccnz .LBB28_54
; %bb.47:                               ;   in Loop: Header=BB28_4 Depth=1
	s_and_saveexec_b32 s47, s0
	s_cbranch_execz .LBB28_53
; %bb.48:                               ;   in Loop: Header=BB28_4 Depth=1
	v_mov_b32_e32 v28, v0
	s_lshl_b64 s[68:69], s[28:29], 3
	s_mov_b32 s89, 0
	s_add_nc_u64 s[68:69], s[56:57], s[68:69]
	s_branch .LBB28_50
.LBB28_49:                              ;   in Loop: Header=BB28_50 Depth=2
	v_ashrrev_i32_e32 v29, 31, v28
	v_add_nc_u64_e32 v[24:25], s[40:41], v[24:25]
	v_add_nc_u64_e32 v[26:27], s[40:41], v[26:27]
	s_delay_alu instid0(VALU_DEP_3)
	v_lshl_add_u64 v[32:33], v[28:29], 3, s[56:57]
	s_wait_xcnt 0x0
	v_add_nc_u32_e32 v28, s12, v28
	s_wait_loadcnt 0x0
	global_store_b64 v[32:33], v[30:31], off
	v_cmp_le_i32_e32 vcc_lo, s15, v28
	s_or_b32 s89, vcc_lo, s89
	s_wait_xcnt 0x0
	s_and_not1_b32 exec_lo, exec_lo, s89
	s_cbranch_execz .LBB28_53
.LBB28_50:                              ;   Parent Loop BB28_4 Depth=1
                                        ; =>  This Loop Header: Depth=2
                                        ;       Child Loop BB28_52 Depth 3
	global_load_b64 v[30:31], v28, s[68:69] scale_offset
	s_and_not1_b32 vcc_lo, exec_lo, s87
	s_cbranch_vccnz .LBB28_49
; %bb.51:                               ;   in Loop: Header=BB28_50 Depth=2
	s_mov_b64 s[70:71], 0
	s_mov_b64 s[72:73], s[66:67]
	;; [unrolled: 1-line block ×3, first 2 shown]
	s_mov_b32 s90, s26
.LBB28_52:                              ;   Parent Loop BB28_4 Depth=1
                                        ;     Parent Loop BB28_50 Depth=2
                                        ; =>    This Inner Loop Header: Depth=3
	v_add_nc_u64_e32 v[32:33], s[70:71], v[26:27]
	s_wait_xcnt 0x0
	v_add_nc_u64_e32 v[40:41], s[70:71], v[24:25]
	s_add_co_i32 s90, s90, -1
	s_sub_nc_u64 s[70:71], s[70:71], s[42:43]
	s_cmp_eq_u32 s90, 0
	s_clause 0x1
	global_load_b32 v34, v1, s[74:75]
	global_load_b32 v36, v1, s[72:73]
	global_load_b64 v[32:33], v[32:33], off
	s_wait_xcnt 0x2
	s_add_nc_u64 s[74:75], s[74:75], -4
	s_wait_xcnt 0x1
	s_add_nc_u64 s[72:73], s[72:73], -4
	s_wait_loadcnt 0x0
	v_pk_mul_f32 v[38:39], v[36:37], v[32:33] op_sel_hi:[0,1]
	s_wait_xcnt 0x0
	v_pk_mul_f32 v[32:33], v[34:35], v[32:33] op_sel_hi:[0,1]
	s_delay_alu instid0(VALU_DEP_2) | instskip(NEXT) | instid1(VALU_DEP_2)
	v_pk_fma_f32 v[34:35], v[30:31], v[34:35], v[38:39] op_sel_hi:[1,0,1] neg_lo:[0,0,1] neg_hi:[0,0,1]
	v_pk_fma_f32 v[30:31], v[30:31], v[36:37], v[32:33] op_sel_hi:[1,0,1]
	global_store_b64 v[40:41], v[34:35], off
	s_cbranch_scc0 .LBB28_52
	s_branch .LBB28_49
.LBB28_53:                              ;   in Loop: Header=BB28_4 Depth=1
	s_or_b32 exec_lo, exec_lo, s47
.LBB28_54:                              ;   in Loop: Header=BB28_4 Depth=1
	s_mov_b32 s47, 0
.LBB28_55:                              ;   in Loop: Header=BB28_4 Depth=1
	s_delay_alu instid0(SALU_CYCLE_1)
	s_and_not1_b32 vcc_lo, exec_lo, s47
	s_cbranch_vccnz .LBB28_62
; %bb.56:                               ;   in Loop: Header=BB28_4 Depth=1
	s_and_saveexec_b32 s47, s0
	s_cbranch_execz .LBB28_61
; %bb.57:                               ;   in Loop: Header=BB28_4 Depth=1
	v_mov_b32_e32 v24, v0
	s_lshl_b64 s[64:65], s[28:29], 3
	s_mov_b32 s70, 0
	s_add_nc_u64 s[64:65], s[56:57], s[64:65]
	s_branch .LBB28_59
.LBB28_58:                              ;   in Loop: Header=BB28_59 Depth=2
	v_ashrrev_i32_e32 v25, 31, v24
	v_add_nc_u64_e32 v[22:23], s[40:41], v[22:23]
	s_delay_alu instid0(VALU_DEP_2)
	v_lshl_add_u64 v[28:29], v[24:25], 3, s[64:65]
	s_wait_xcnt 0x0
	v_add_nc_u32_e32 v24, s12, v24
	s_wait_loadcnt 0x0
	global_store_b64 v[28:29], v[26:27], off
	v_cmp_le_i32_e32 vcc_lo, s15, v24
	s_or_b32 s70, vcc_lo, s70
	s_wait_xcnt 0x0
	s_and_not1_b32 exec_lo, exec_lo, s70
	s_cbranch_execz .LBB28_61
.LBB28_59:                              ;   Parent Loop BB28_4 Depth=1
                                        ; =>  This Loop Header: Depth=2
                                        ;       Child Loop BB28_60 Depth 3
	global_load_b64 v[26:27], v24, s[56:57] scale_offset
	v_mov_b64_e32 v[28:29], v[22:23]
	s_and_not1_b32 vcc_lo, exec_lo, s87
	s_mov_b64 s[66:67], s[54:55]
	s_mov_b64 s[68:69], s[52:53]
	s_mov_b32 s71, s26
	s_cbranch_vccnz .LBB28_58
.LBB28_60:                              ;   Parent Loop BB28_4 Depth=1
                                        ;     Parent Loop BB28_59 Depth=2
                                        ; =>    This Inner Loop Header: Depth=3
	s_delay_alu instid0(VALU_DEP_1)
	v_add_nc_u64_e32 v[30:31], s[42:43], v[28:29]
	s_add_co_i32 s71, s71, -1
	global_load_b64 v[32:33], v[30:31], off
	s_clause 0x1
	global_load_b32 v34, v1, s[66:67]
	global_load_b32 v36, v1, s[68:69]
	s_wait_xcnt 0x0
	s_add_nc_u64 s[68:69], s[68:69], 4
	s_cmp_eq_u32 s71, 0
	s_add_nc_u64 s[66:67], s[66:67], 4
	s_wait_loadcnt 0x1
	v_pk_mul_f32 v[38:39], v[34:35], v[32:33] op_sel_hi:[0,1]
	v_pk_mul_f32 v[34:35], v[26:27], v[34:35] op_sel_hi:[1,0]
	s_wait_loadcnt 0x0
	s_delay_alu instid0(VALU_DEP_2) | instskip(NEXT) | instid1(VALU_DEP_2)
	v_pk_fma_f32 v[38:39], v[26:27], v[36:37], v[38:39] op_sel_hi:[1,0,1]
	v_pk_fma_f32 v[26:27], v[36:37], v[32:33], v[34:35] op_sel_hi:[0,1,1] neg_lo:[0,0,1] neg_hi:[0,0,1]
	global_store_b64 v[28:29], v[38:39], off
	s_wait_xcnt 0x0
	v_mov_b64_e32 v[28:29], v[30:31]
	s_cbranch_scc0 .LBB28_60
	s_branch .LBB28_58
.LBB28_61:                              ;   in Loop: Header=BB28_4 Depth=1
	s_or_b32 exec_lo, exec_lo, s47
.LBB28_62:                              ;   in Loop: Header=BB28_4 Depth=1
	s_mov_b32 s47, 0
.LBB28_63:                              ;   in Loop: Header=BB28_4 Depth=1
	s_delay_alu instid0(SALU_CYCLE_1)
	s_and_not1_b32 vcc_lo, exec_lo, s47
	s_cbranch_vccnz .LBB28_70
; %bb.64:                               ;   in Loop: Header=BB28_4 Depth=1
	s_and_saveexec_b32 s47, s1
	s_cbranch_execz .LBB28_69
; %bb.65:                               ;   in Loop: Header=BB28_4 Depth=1
	v_add_nc_u64_e32 v[22:23], s[62:63], v[12:13]
	v_mov_b32_e32 v24, v0
	s_lshl_b64 s[64:65], s[30:31], 3
	s_mov_b32 s70, 0
	s_add_nc_u64 s[64:65], s[56:57], s[64:65]
	s_branch .LBB28_67
.LBB28_66:                              ;   in Loop: Header=BB28_67 Depth=2
	v_add_nc_u32_e32 v24, s12, v24
	v_add_nc_u64_e32 v[22:23], s[50:51], v[22:23]
	s_wait_loadcnt 0x0
	global_store_b64 v[26:27], v[28:29], off offset:-8
	v_cmp_le_i32_e32 vcc_lo, s23, v24
	s_or_b32 s70, vcc_lo, s70
	s_wait_xcnt 0x0
	s_and_not1_b32 exec_lo, exec_lo, s70
	s_cbranch_execz .LBB28_69
.LBB28_67:                              ;   Parent Loop BB28_4 Depth=1
                                        ; =>  This Loop Header: Depth=2
                                        ;       Child Loop BB28_68 Depth 3
	v_ashrrev_i32_e32 v25, 31, v24
	v_mov_b64_e32 v[30:31], v[22:23]
	s_and_not1_b32 vcc_lo, exec_lo, s88
	s_mov_b64 s[66:67], s[60:61]
	s_mov_b64 s[68:69], s[58:59]
	v_mul_u64_e32 v[26:27], s[20:21], v[24:25]
	s_mov_b32 s71, s46
	s_delay_alu instid0(VALU_DEP_1)
	v_lshl_add_u64 v[26:27], v[26:27], 3, s[64:65]
	global_load_b64 v[28:29], v[26:27], off offset:-8
	s_cbranch_vccnz .LBB28_66
.LBB28_68:                              ;   Parent Loop BB28_4 Depth=1
                                        ;     Parent Loop BB28_67 Depth=2
                                        ; =>    This Inner Loop Header: Depth=3
	global_load_b64 v[32:33], v[30:31], off
	s_clause 0x1
	global_load_b32 v34, v1, s[68:69]
	global_load_b32 v36, v1, s[66:67]
	s_add_co_i32 s71, s71, -1
	s_wait_xcnt 0x1
	s_add_nc_u64 s[68:69], s[68:69], -4
	s_cmp_eq_u32 s71, 0
	s_wait_xcnt 0x0
	s_add_nc_u64 s[66:67], s[66:67], -4
	s_wait_loadcnt 0x1
	v_pk_mul_f32 v[38:39], v[34:35], v[32:33] op_sel_hi:[0,1]
	s_wait_loadcnt 0x0
	v_pk_mul_f32 v[32:33], v[36:37], v[32:33] op_sel_hi:[0,1]
	s_delay_alu instid0(VALU_DEP_2) | instskip(NEXT) | instid1(VALU_DEP_2)
	v_pk_fma_f32 v[38:39], v[28:29], v[36:37], v[38:39] op_sel_hi:[1,0,1]
	v_pk_fma_f32 v[28:29], v[28:29], v[34:35], v[32:33] op_sel_hi:[1,0,1] neg_lo:[0,0,1] neg_hi:[0,0,1]
	global_store_b64 v[30:31], v[38:39], off
	s_wait_xcnt 0x0
	v_add_nc_u64_e32 v[30:31], -8, v[30:31]
	s_cbranch_scc0 .LBB28_68
	s_branch .LBB28_66
.LBB28_69:                              ;   in Loop: Header=BB28_4 Depth=1
	s_or_b32 exec_lo, exec_lo, s47
.LBB28_70:                              ;   in Loop: Header=BB28_4 Depth=1
	s_mov_b32 s47, 0
.LBB28_71:                              ;   in Loop: Header=BB28_4 Depth=1
	s_delay_alu instid0(SALU_CYCLE_1)
	s_and_not1_b32 vcc_lo, exec_lo, s47
	s_cbranch_vccnz .LBB28_78
; %bb.72:                               ;   in Loop: Header=BB28_4 Depth=1
	s_and_saveexec_b32 s47, s1
	s_cbranch_execz .LBB28_77
; %bb.73:                               ;   in Loop: Header=BB28_4 Depth=1
	v_add_nc_u64_e32 v[22:23], s[62:63], v[10:11]
	v_mov_b32_e32 v24, v0
	s_lshl_b64 s[64:65], s[30:31], 3
	s_mov_b32 s70, 0
	s_add_nc_u64 s[64:65], s[56:57], s[64:65]
	s_branch .LBB28_75
.LBB28_74:                              ;   in Loop: Header=BB28_75 Depth=2
	v_add_nc_u32_e32 v24, s12, v24
	v_add_nc_u64_e32 v[22:23], s[50:51], v[22:23]
	s_wait_loadcnt 0x0
	global_store_b64 v[26:27], v[28:29], off offset:-8
	v_cmp_le_i32_e32 vcc_lo, s23, v24
	s_or_b32 s70, vcc_lo, s70
	s_wait_xcnt 0x0
	s_and_not1_b32 exec_lo, exec_lo, s70
	s_cbranch_execz .LBB28_77
.LBB28_75:                              ;   Parent Loop BB28_4 Depth=1
                                        ; =>  This Loop Header: Depth=2
                                        ;       Child Loop BB28_76 Depth 3
	v_ashrrev_i32_e32 v25, 31, v24
	v_mov_b64_e32 v[30:31], v[22:23]
	s_and_not1_b32 vcc_lo, exec_lo, s88
	s_mov_b64 s[66:67], s[54:55]
	s_mov_b64 s[68:69], s[52:53]
	v_mul_u64_e32 v[26:27], s[20:21], v[24:25]
	s_mov_b32 s71, s46
	s_delay_alu instid0(VALU_DEP_1)
	v_lshl_add_u64 v[26:27], v[26:27], 3, s[64:65]
	global_load_b64 v[28:29], v[26:27], off offset:-8
	s_cbranch_vccnz .LBB28_74
.LBB28_76:                              ;   Parent Loop BB28_4 Depth=1
                                        ;     Parent Loop BB28_75 Depth=2
                                        ; =>    This Inner Loop Header: Depth=3
	global_load_b64 v[32:33], v[30:31], off
	s_clause 0x1
	global_load_b32 v34, v1, s[68:69]
	global_load_b32 v36, v1, s[66:67]
	s_add_co_i32 s71, s71, -1
	s_wait_xcnt 0x1
	s_add_nc_u64 s[68:69], s[68:69], 4
	s_cmp_eq_u32 s71, 0
	s_wait_xcnt 0x0
	s_add_nc_u64 s[66:67], s[66:67], 4
	s_wait_loadcnt 0x1
	v_pk_mul_f32 v[38:39], v[34:35], v[32:33] op_sel_hi:[0,1]
	s_wait_loadcnt 0x0
	v_pk_mul_f32 v[32:33], v[36:37], v[32:33] op_sel_hi:[0,1]
	s_delay_alu instid0(VALU_DEP_2) | instskip(NEXT) | instid1(VALU_DEP_2)
	v_pk_fma_f32 v[38:39], v[28:29], v[36:37], v[38:39] op_sel_hi:[1,0,1]
	v_pk_fma_f32 v[28:29], v[28:29], v[34:35], v[32:33] op_sel_hi:[1,0,1] neg_lo:[0,0,1] neg_hi:[0,0,1]
	global_store_b64 v[30:31], v[38:39], off
	s_wait_xcnt 0x0
	v_add_nc_u64_e32 v[30:31], 8, v[30:31]
	s_cbranch_scc0 .LBB28_76
	s_branch .LBB28_74
.LBB28_77:                              ;   in Loop: Header=BB28_4 Depth=1
	s_or_b32 exec_lo, exec_lo, s47
.LBB28_78:                              ;   in Loop: Header=BB28_4 Depth=1
	s_mov_b32 s47, 0
.LBB28_79:                              ;   in Loop: Header=BB28_4 Depth=1
	s_delay_alu instid0(SALU_CYCLE_1)
	s_and_not1_b32 vcc_lo, exec_lo, s47
	s_cbranch_vccnz .LBB28_86
; %bb.80:                               ;   in Loop: Header=BB28_4 Depth=1
	s_and_saveexec_b32 s47, s1
	s_cbranch_execz .LBB28_85
; %bb.81:                               ;   in Loop: Header=BB28_4 Depth=1
	v_add_nc_u64_e32 v[22:23], s[62:63], v[14:15]
	v_mov_b32_e32 v24, v0
	s_mov_b32 s68, 0
	s_branch .LBB28_83
.LBB28_82:                              ;   in Loop: Header=BB28_83 Depth=2
	v_add_nc_u32_e32 v24, s12, v24
	v_add_nc_u64_e32 v[22:23], s[50:51], v[22:23]
	s_wait_loadcnt 0x0
	global_store_b64 v[26:27], v[28:29], off
	v_cmp_le_i32_e32 vcc_lo, s23, v24
	s_or_b32 s68, vcc_lo, s68
	s_wait_xcnt 0x0
	s_and_not1_b32 exec_lo, exec_lo, s68
	s_cbranch_execz .LBB28_85
.LBB28_83:                              ;   Parent Loop BB28_4 Depth=1
                                        ; =>  This Loop Header: Depth=2
                                        ;       Child Loop BB28_84 Depth 3
	s_delay_alu instid0(VALU_DEP_1) | instskip(NEXT) | instid1(VALU_DEP_3)
	v_ashrrev_i32_e32 v25, 31, v24
	v_mov_b64_e32 v[30:31], v[22:23]
	s_and_not1_b32 vcc_lo, exec_lo, s88
	s_mov_b64 s[64:65], s[60:61]
	s_mov_b64 s[66:67], s[58:59]
	v_mul_u64_e32 v[26:27], s[20:21], v[24:25]
	s_mov_b32 s69, s13
	s_delay_alu instid0(VALU_DEP_1)
	v_lshl_add_u64 v[26:27], v[26:27], 3, s[56:57]
	global_load_b64 v[28:29], v[26:27], off
	s_cbranch_vccnz .LBB28_82
.LBB28_84:                              ;   Parent Loop BB28_4 Depth=1
                                        ;     Parent Loop BB28_83 Depth=2
                                        ; =>    This Inner Loop Header: Depth=3
	s_clause 0x1
	global_load_b32 v32, v1, s[64:65]
	global_load_b32 v34, v1, s[66:67]
	global_load_b64 v[36:37], v[30:31], off
	s_add_co_i32 s69, s69, -1
	s_wait_xcnt 0x1
	s_add_nc_u64 s[66:67], s[66:67], -4
	s_cmp_lt_u32 s69, 3
	s_add_nc_u64 s[64:65], s[64:65], -4
	s_wait_loadcnt 0x2
	v_pk_mul_f32 v[38:39], v[28:29], v[32:33] op_sel_hi:[1,0]
	s_wait_loadcnt 0x0
	v_pk_mul_f32 v[32:33], v[32:33], v[36:37] op_sel_hi:[0,1]
	s_delay_alu instid0(VALU_DEP_2) | instskip(NEXT) | instid1(VALU_DEP_2)
	v_pk_fma_f32 v[38:39], v[34:35], v[36:37], v[38:39] op_sel_hi:[0,1,1] neg_lo:[0,0,1] neg_hi:[0,0,1]
	v_pk_fma_f32 v[28:29], v[28:29], v[34:35], v[32:33] op_sel_hi:[1,0,1]
	global_store_b64 v[30:31], v[38:39], off
	s_wait_xcnt 0x0
	v_add_nc_u64_e32 v[30:31], -8, v[30:31]
	s_cbranch_scc0 .LBB28_84
	s_branch .LBB28_82
.LBB28_85:                              ;   in Loop: Header=BB28_4 Depth=1
	s_or_b32 exec_lo, exec_lo, s47
.LBB28_86:                              ;   in Loop: Header=BB28_4 Depth=1
	s_mov_b32 s47, 0
.LBB28_87:                              ;   in Loop: Header=BB28_4 Depth=1
	s_delay_alu instid0(SALU_CYCLE_1)
	s_and_not1_b32 vcc_lo, exec_lo, s47
	s_cbranch_vccnz .LBB28_94
; %bb.88:                               ;   in Loop: Header=BB28_4 Depth=1
	s_and_saveexec_b32 s47, s1
	s_cbranch_execz .LBB28_93
; %bb.89:                               ;   in Loop: Header=BB28_4 Depth=1
	v_mov_b64_e32 v[22:23], v[20:21]
	v_mov_b32_e32 v24, v0
	s_mov_b32 s68, 0
	s_branch .LBB28_91
.LBB28_90:                              ;   in Loop: Header=BB28_91 Depth=2
	v_add_nc_u32_e32 v24, s12, v24
	v_add_nc_u64_e32 v[22:23], s[50:51], v[22:23]
	s_wait_loadcnt 0x0
	global_store_b64 v[26:27], v[28:29], off
	v_cmp_le_i32_e32 vcc_lo, s23, v24
	s_or_b32 s68, vcc_lo, s68
	s_wait_xcnt 0x0
	s_and_not1_b32 exec_lo, exec_lo, s68
	s_cbranch_execz .LBB28_93
.LBB28_91:                              ;   Parent Loop BB28_4 Depth=1
                                        ; =>  This Loop Header: Depth=2
                                        ;       Child Loop BB28_92 Depth 3
	s_delay_alu instid0(VALU_DEP_1) | instskip(NEXT) | instid1(VALU_DEP_3)
	v_ashrrev_i32_e32 v25, 31, v24
	v_mov_b64_e32 v[30:31], v[22:23]
	s_and_not1_b32 vcc_lo, exec_lo, s88
	s_mov_b32 s69, s46
	s_mov_b64 s[64:65], s[52:53]
	v_mul_u64_e32 v[26:27], s[20:21], v[24:25]
	s_mov_b64 s[66:67], s[54:55]
	s_delay_alu instid0(VALU_DEP_1)
	v_lshl_add_u64 v[26:27], v[26:27], 3, s[56:57]
	global_load_b64 v[28:29], v[26:27], off
	s_cbranch_vccnz .LBB28_90
.LBB28_92:                              ;   Parent Loop BB28_4 Depth=1
                                        ;     Parent Loop BB28_91 Depth=2
                                        ; =>    This Inner Loop Header: Depth=3
	s_clause 0x1
	global_load_b32 v32, v1, s[66:67]
	global_load_b32 v34, v1, s[64:65]
	global_load_b64 v[36:37], v[30:31], off
	s_add_co_i32 s69, s69, -1
	s_wait_xcnt 0x2
	s_add_nc_u64 s[66:67], s[66:67], 4
	s_cmp_eq_u32 s69, 0
	s_wait_xcnt 0x1
	s_add_nc_u64 s[64:65], s[64:65], 4
	s_wait_loadcnt 0x2
	v_pk_mul_f32 v[38:39], v[28:29], v[32:33] op_sel_hi:[1,0]
	s_wait_loadcnt 0x0
	v_pk_mul_f32 v[32:33], v[32:33], v[36:37] op_sel_hi:[0,1]
	s_delay_alu instid0(VALU_DEP_2) | instskip(NEXT) | instid1(VALU_DEP_2)
	v_pk_fma_f32 v[38:39], v[34:35], v[36:37], v[38:39] op_sel_hi:[0,1,1] neg_lo:[0,0,1] neg_hi:[0,0,1]
	v_pk_fma_f32 v[28:29], v[28:29], v[34:35], v[32:33] op_sel_hi:[1,0,1]
	global_store_b64 v[30:31], v[38:39], off
	s_wait_xcnt 0x0
	v_add_nc_u64_e32 v[30:31], 8, v[30:31]
	s_cbranch_scc0 .LBB28_92
	s_branch .LBB28_90
.LBB28_93:                              ;   in Loop: Header=BB28_4 Depth=1
	s_or_b32 exec_lo, exec_lo, s47
.LBB28_94:                              ;   in Loop: Header=BB28_4 Depth=1
	s_mov_b32 s47, 0
.LBB28_95:                              ;   in Loop: Header=BB28_4 Depth=1
	s_delay_alu instid0(SALU_CYCLE_1)
	s_and_not1_b32 vcc_lo, exec_lo, s47
	s_cbranch_vccnz .LBB28_102
; %bb.96:                               ;   in Loop: Header=BB28_4 Depth=1
	s_and_saveexec_b32 s47, s1
	s_cbranch_execz .LBB28_101
; %bb.97:                               ;   in Loop: Header=BB28_4 Depth=1
	v_add_nc_u64_e32 v[22:23], s[62:63], v[18:19]
	v_mov_b32_e32 v24, v0
	s_lshl_b64 s[62:63], s[30:31], 3
	s_mov_b32 s68, 0
	s_add_nc_u64 s[62:63], s[56:57], s[62:63]
	s_branch .LBB28_99
.LBB28_98:                              ;   in Loop: Header=BB28_99 Depth=2
	v_add_nc_u32_e32 v24, s12, v24
	v_add_nc_u64_e32 v[22:23], s[50:51], v[22:23]
	v_lshl_add_u64 v[26:27], v[26:27], 3, s[56:57]
	s_delay_alu instid0(VALU_DEP_3)
	v_cmp_le_i32_e32 vcc_lo, s23, v24
	s_wait_loadcnt 0x0
	global_store_b64 v[26:27], v[28:29], off
	s_or_b32 s68, vcc_lo, s68
	s_wait_xcnt 0x0
	s_and_not1_b32 exec_lo, exec_lo, s68
	s_cbranch_execz .LBB28_101
.LBB28_99:                              ;   Parent Loop BB28_4 Depth=1
                                        ; =>  This Loop Header: Depth=2
                                        ;       Child Loop BB28_100 Depth 3
	v_ashrrev_i32_e32 v25, 31, v24
	v_mov_b64_e32 v[30:31], v[22:23]
	s_and_not1_b32 vcc_lo, exec_lo, s88
	s_mov_b64 s[64:65], s[60:61]
	s_mov_b64 s[66:67], s[58:59]
	v_mul_u64_e32 v[26:27], s[20:21], v[24:25]
	s_mov_b32 s69, s46
	s_delay_alu instid0(VALU_DEP_1)
	v_lshl_add_u64 v[28:29], v[26:27], 3, s[62:63]
	global_load_b64 v[28:29], v[28:29], off offset:-8
	s_cbranch_vccnz .LBB28_98
.LBB28_100:                             ;   Parent Loop BB28_4 Depth=1
                                        ;     Parent Loop BB28_99 Depth=2
                                        ; =>    This Inner Loop Header: Depth=3
	global_load_b64 v[32:33], v[30:31], off offset:-8
	s_clause 0x1
	global_load_b32 v34, v1, s[64:65]
	global_load_b32 v36, v1, s[66:67]
	v_add_nc_u64_e32 v[40:41], -8, v[30:31]
	s_add_co_i32 s69, s69, -1
	s_wait_xcnt 0x0
	s_add_nc_u64 s[66:67], s[66:67], -4
	s_cmp_eq_u32 s69, 0
	s_add_nc_u64 s[64:65], s[64:65], -4
	s_wait_loadcnt 0x1
	v_pk_mul_f32 v[38:39], v[34:35], v[32:33] op_sel_hi:[0,1]
	s_wait_loadcnt 0x0
	v_pk_mul_f32 v[32:33], v[36:37], v[32:33] op_sel_hi:[0,1]
	s_delay_alu instid0(VALU_DEP_2) | instskip(NEXT) | instid1(VALU_DEP_2)
	v_pk_fma_f32 v[36:37], v[28:29], v[36:37], v[38:39] op_sel_hi:[1,0,1] neg_lo:[0,0,1] neg_hi:[0,0,1]
	v_pk_fma_f32 v[28:29], v[28:29], v[34:35], v[32:33] op_sel_hi:[1,0,1]
	global_store_b64 v[30:31], v[36:37], off
	s_wait_xcnt 0x0
	v_mov_b64_e32 v[30:31], v[40:41]
	s_cbranch_scc0 .LBB28_100
	s_branch .LBB28_98
.LBB28_101:                             ;   in Loop: Header=BB28_4 Depth=1
	s_or_b32 exec_lo, exec_lo, s47
.LBB28_102:                             ;   in Loop: Header=BB28_4 Depth=1
	s_cbranch_execnz .LBB28_3
.LBB28_103:                             ;   in Loop: Header=BB28_4 Depth=1
	s_and_saveexec_b32 s47, s1
	s_cbranch_execz .LBB28_2
; %bb.104:                              ;   in Loop: Header=BB28_4 Depth=1
	v_mov_b32_e32 v22, v0
	s_lshl_b64 s[58:59], s[30:31], 3
	s_mov_b32 s64, 0
	s_add_nc_u64 s[58:59], s[56:57], s[58:59]
	s_branch .LBB28_106
.LBB28_105:                             ;   in Loop: Header=BB28_106 Depth=2
	v_add_nc_u32_e32 v22, s12, v22
	v_add_nc_u64_e32 v[20:21], s[50:51], v[20:21]
	v_lshl_add_u64 v[24:25], v[24:25], 3, s[58:59]
	s_delay_alu instid0(VALU_DEP_3)
	v_cmp_le_i32_e32 vcc_lo, s23, v22
	s_wait_loadcnt 0x0
	global_store_b64 v[24:25], v[26:27], off offset:-8
	s_or_b32 s64, vcc_lo, s64
	s_wait_xcnt 0x0
	s_and_not1_b32 exec_lo, exec_lo, s64
	s_cbranch_execz .LBB28_2
.LBB28_106:                             ;   Parent Loop BB28_4 Depth=1
                                        ; =>  This Loop Header: Depth=2
                                        ;       Child Loop BB28_107 Depth 3
	v_ashrrev_i32_e32 v23, 31, v22
	v_mov_b64_e32 v[28:29], v[20:21]
	s_and_not1_b32 vcc_lo, exec_lo, s88
	s_mov_b64 s[60:61], s[54:55]
	s_mov_b64 s[62:63], s[52:53]
	v_mul_u64_e32 v[24:25], s[20:21], v[22:23]
	s_mov_b32 s65, s46
	s_delay_alu instid0(VALU_DEP_1)
	v_lshl_add_u64 v[26:27], v[24:25], 3, s[56:57]
	global_load_b64 v[26:27], v[26:27], off
	s_cbranch_vccnz .LBB28_105
.LBB28_107:                             ;   Parent Loop BB28_4 Depth=1
                                        ;     Parent Loop BB28_106 Depth=2
                                        ; =>    This Inner Loop Header: Depth=3
	global_load_b64 v[30:31], v[28:29], off
	s_clause 0x1
	global_load_b32 v32, v1, s[60:61]
	global_load_b32 v34, v1, s[62:63]
	s_add_co_i32 s65, s65, -1
	s_wait_xcnt 0x0
	s_add_nc_u64 s[62:63], s[62:63], 4
	s_cmp_eq_u32 s65, 0
	s_add_nc_u64 s[60:61], s[60:61], 4
	s_wait_loadcnt 0x1
	v_pk_mul_f32 v[36:37], v[32:33], v[30:31] op_sel_hi:[0,1]
	s_wait_loadcnt 0x0
	s_delay_alu instid0(VALU_DEP_1)
	v_pk_fma_f32 v[36:37], v[26:27], v[34:35], v[36:37] op_sel_hi:[1,0,1]
	v_pk_mul_f32 v[26:27], v[26:27], v[32:33] op_sel_hi:[1,0]
	global_store_b64 v[28:29], v[36:37], off offset:-8
	s_wait_xcnt 0x0
	v_add_nc_u64_e32 v[28:29], 8, v[28:29]
	v_pk_fma_f32 v[26:27], v[34:35], v[30:31], v[26:27] op_sel_hi:[0,1,1] neg_lo:[0,0,1] neg_hi:[0,0,1]
	s_cbranch_scc0 .LBB28_107
	s_branch .LBB28_105
.LBB28_108:
	s_endpgm
	.section	.rodata,"a",@progbits
	.p2align	6, 0x0
	.amdhsa_kernel _ZN9rocsolver6v33100L11lasr_kernelI19rocblas_complex_numIfEfPS3_iEEv13rocblas_side_14rocblas_pivot_15rocblas_direct_T2_S8_PT0_lSA_lT1_lS8_lS8_
		.amdhsa_group_segment_fixed_size 0
		.amdhsa_private_segment_fixed_size 0
		.amdhsa_kernarg_size 352
		.amdhsa_user_sgpr_count 2
		.amdhsa_user_sgpr_dispatch_ptr 0
		.amdhsa_user_sgpr_queue_ptr 0
		.amdhsa_user_sgpr_kernarg_segment_ptr 1
		.amdhsa_user_sgpr_dispatch_id 0
		.amdhsa_user_sgpr_kernarg_preload_length 0
		.amdhsa_user_sgpr_kernarg_preload_offset 0
		.amdhsa_user_sgpr_private_segment_size 0
		.amdhsa_wavefront_size32 1
		.amdhsa_uses_dynamic_stack 0
		.amdhsa_enable_private_segment 0
		.amdhsa_system_sgpr_workgroup_id_x 1
		.amdhsa_system_sgpr_workgroup_id_y 0
		.amdhsa_system_sgpr_workgroup_id_z 1
		.amdhsa_system_sgpr_workgroup_info 0
		.amdhsa_system_vgpr_workitem_id 0
		.amdhsa_next_free_vgpr 44
		.amdhsa_next_free_sgpr 91
		.amdhsa_named_barrier_count 0
		.amdhsa_reserve_vcc 1
		.amdhsa_float_round_mode_32 0
		.amdhsa_float_round_mode_16_64 0
		.amdhsa_float_denorm_mode_32 3
		.amdhsa_float_denorm_mode_16_64 3
		.amdhsa_fp16_overflow 0
		.amdhsa_memory_ordered 1
		.amdhsa_forward_progress 1
		.amdhsa_inst_pref_size 34
		.amdhsa_round_robin_scheduling 0
		.amdhsa_exception_fp_ieee_invalid_op 0
		.amdhsa_exception_fp_denorm_src 0
		.amdhsa_exception_fp_ieee_div_zero 0
		.amdhsa_exception_fp_ieee_overflow 0
		.amdhsa_exception_fp_ieee_underflow 0
		.amdhsa_exception_fp_ieee_inexact 0
		.amdhsa_exception_int_div_zero 0
	.end_amdhsa_kernel
	.section	.text._ZN9rocsolver6v33100L11lasr_kernelI19rocblas_complex_numIfEfPS3_iEEv13rocblas_side_14rocblas_pivot_15rocblas_direct_T2_S8_PT0_lSA_lT1_lS8_lS8_,"axG",@progbits,_ZN9rocsolver6v33100L11lasr_kernelI19rocblas_complex_numIfEfPS3_iEEv13rocblas_side_14rocblas_pivot_15rocblas_direct_T2_S8_PT0_lSA_lT1_lS8_lS8_,comdat
.Lfunc_end28:
	.size	_ZN9rocsolver6v33100L11lasr_kernelI19rocblas_complex_numIfEfPS3_iEEv13rocblas_side_14rocblas_pivot_15rocblas_direct_T2_S8_PT0_lSA_lT1_lS8_lS8_, .Lfunc_end28-_ZN9rocsolver6v33100L11lasr_kernelI19rocblas_complex_numIfEfPS3_iEEv13rocblas_side_14rocblas_pivot_15rocblas_direct_T2_S8_PT0_lSA_lT1_lS8_lS8_
                                        ; -- End function
	.set _ZN9rocsolver6v33100L11lasr_kernelI19rocblas_complex_numIfEfPS3_iEEv13rocblas_side_14rocblas_pivot_15rocblas_direct_T2_S8_PT0_lSA_lT1_lS8_lS8_.num_vgpr, 44
	.set _ZN9rocsolver6v33100L11lasr_kernelI19rocblas_complex_numIfEfPS3_iEEv13rocblas_side_14rocblas_pivot_15rocblas_direct_T2_S8_PT0_lSA_lT1_lS8_lS8_.num_agpr, 0
	.set _ZN9rocsolver6v33100L11lasr_kernelI19rocblas_complex_numIfEfPS3_iEEv13rocblas_side_14rocblas_pivot_15rocblas_direct_T2_S8_PT0_lSA_lT1_lS8_lS8_.numbered_sgpr, 91
	.set _ZN9rocsolver6v33100L11lasr_kernelI19rocblas_complex_numIfEfPS3_iEEv13rocblas_side_14rocblas_pivot_15rocblas_direct_T2_S8_PT0_lSA_lT1_lS8_lS8_.num_named_barrier, 0
	.set _ZN9rocsolver6v33100L11lasr_kernelI19rocblas_complex_numIfEfPS3_iEEv13rocblas_side_14rocblas_pivot_15rocblas_direct_T2_S8_PT0_lSA_lT1_lS8_lS8_.private_seg_size, 0
	.set _ZN9rocsolver6v33100L11lasr_kernelI19rocblas_complex_numIfEfPS3_iEEv13rocblas_side_14rocblas_pivot_15rocblas_direct_T2_S8_PT0_lSA_lT1_lS8_lS8_.uses_vcc, 1
	.set _ZN9rocsolver6v33100L11lasr_kernelI19rocblas_complex_numIfEfPS3_iEEv13rocblas_side_14rocblas_pivot_15rocblas_direct_T2_S8_PT0_lSA_lT1_lS8_lS8_.uses_flat_scratch, 0
	.set _ZN9rocsolver6v33100L11lasr_kernelI19rocblas_complex_numIfEfPS3_iEEv13rocblas_side_14rocblas_pivot_15rocblas_direct_T2_S8_PT0_lSA_lT1_lS8_lS8_.has_dyn_sized_stack, 0
	.set _ZN9rocsolver6v33100L11lasr_kernelI19rocblas_complex_numIfEfPS3_iEEv13rocblas_side_14rocblas_pivot_15rocblas_direct_T2_S8_PT0_lSA_lT1_lS8_lS8_.has_recursion, 0
	.set _ZN9rocsolver6v33100L11lasr_kernelI19rocblas_complex_numIfEfPS3_iEEv13rocblas_side_14rocblas_pivot_15rocblas_direct_T2_S8_PT0_lSA_lT1_lS8_lS8_.has_indirect_call, 0
	.section	.AMDGPU.csdata,"",@progbits
; Kernel info:
; codeLenInByte = 4292
; TotalNumSgprs: 93
; NumVgprs: 44
; ScratchSize: 0
; MemoryBound: 0
; FloatMode: 240
; IeeeMode: 1
; LDSByteSize: 0 bytes/workgroup (compile time only)
; SGPRBlocks: 0
; VGPRBlocks: 2
; NumSGPRsForWavesPerEU: 93
; NumVGPRsForWavesPerEU: 44
; NamedBarCnt: 0
; Occupancy: 16
; WaveLimiterHint : 0
; COMPUTE_PGM_RSRC2:SCRATCH_EN: 0
; COMPUTE_PGM_RSRC2:USER_SGPR: 2
; COMPUTE_PGM_RSRC2:TRAP_HANDLER: 0
; COMPUTE_PGM_RSRC2:TGID_X_EN: 1
; COMPUTE_PGM_RSRC2:TGID_Y_EN: 0
; COMPUTE_PGM_RSRC2:TGID_Z_EN: 1
; COMPUTE_PGM_RSRC2:TIDIG_COMP_CNT: 0
	.section	.text._ZN9rocsolver6v33100L11scal_kernelIf19rocblas_complex_numIfEiEEvT1_T_PT0_S4_,"axG",@progbits,_ZN9rocsolver6v33100L11scal_kernelIf19rocblas_complex_numIfEiEEvT1_T_PT0_S4_,comdat
	.globl	_ZN9rocsolver6v33100L11scal_kernelIf19rocblas_complex_numIfEiEEvT1_T_PT0_S4_ ; -- Begin function _ZN9rocsolver6v33100L11scal_kernelIf19rocblas_complex_numIfEiEEvT1_T_PT0_S4_
	.p2align	8
	.type	_ZN9rocsolver6v33100L11scal_kernelIf19rocblas_complex_numIfEiEEvT1_T_PT0_S4_,@function
_ZN9rocsolver6v33100L11scal_kernelIf19rocblas_complex_numIfEiEEvT1_T_PT0_S4_: ; @_ZN9rocsolver6v33100L11scal_kernelIf19rocblas_complex_numIfEiEEvT1_T_PT0_S4_
; %bb.0:
	s_load_b64 s[2:3], s[0:1], 0x0
	s_wait_kmcnt 0x0
	s_cmp_lt_i32 s2, 1
	s_cbranch_scc1 .LBB29_10
; %bb.1:
	s_clause 0x2
	s_load_b32 s7, s[0:1], 0x24
	s_load_b96 s[4:6], s[0:1], 0x8
	s_load_b32 s8, s[0:1], 0x18
	s_wait_xcnt 0x0
	s_bfe_u32 s0, ttmp6, 0x4000c
	s_and_b32 s1, ttmp6, 15
	s_add_co_i32 s0, s0, 1
	s_getreg_b32 s9, hwreg(HW_REG_IB_STS2, 6, 4)
	s_mul_i32 s0, ttmp9, s0
	s_delay_alu instid0(SALU_CYCLE_1)
	s_add_co_i32 s1, s1, s0
	s_wait_kmcnt 0x0
	s_and_b32 s7, s7, 0xffff
	s_cmp_eq_u32 s9, 0
	s_mul_i32 s8, s8, s7
	s_cselect_b32 s0, ttmp9, s1
	s_cmp_eq_u32 s6, 1
	v_mad_u32 v0, s0, s7, v0
	s_mov_b32 s1, -1
	s_delay_alu instid0(VALU_DEP_1)
	v_cmp_gt_i32_e64 s0, s2, v0
	s_cbranch_scc1 .LBB29_6
; %bb.2:
	s_and_saveexec_b32 s1, s0
	s_cbranch_execz .LBB29_5
; %bb.3:
	v_ashrrev_i32_e32 v1, 31, v0
	s_ashr_i32 s7, s6, 31
	s_mov_b32 s10, s3
	s_mov_b32 s11, s3
	s_ashr_i32 s9, s8, 31
	v_mul_u64_e32 v[4:5], s[6:7], v[0:1]
	v_mov_b64_e32 v[2:3], s[10:11]
	v_mov_b32_e32 v1, v0
	s_mul_u64 s[6:7], s[6:7], s[8:9]
	s_mov_b32 s9, 0
	s_lshl_b64 s[6:7], s[6:7], 3
	s_delay_alu instid0(VALU_DEP_3)
	v_lshl_add_u64 v[4:5], v[4:5], 3, s[4:5]
.LBB29_4:                               ; =>This Inner Loop Header: Depth=1
	global_load_b64 v[6:7], v[4:5], off
	v_add_nc_u32_e32 v1, s8, v1
	s_delay_alu instid0(VALU_DEP_1)
	v_cmp_le_i32_e32 vcc_lo, s2, v1
	s_or_b32 s9, vcc_lo, s9
	s_wait_loadcnt 0x0
	v_pk_mul_f32 v[6:7], v[2:3], v[6:7]
	global_store_b64 v[4:5], v[6:7], off
	s_wait_xcnt 0x0
	v_add_nc_u64_e32 v[4:5], s[6:7], v[4:5]
	s_and_not1_b32 exec_lo, exec_lo, s9
	s_cbranch_execnz .LBB29_4
.LBB29_5:
	s_or_b32 exec_lo, exec_lo, s1
	s_mov_b32 s1, 0
.LBB29_6:
	s_delay_alu instid0(SALU_CYCLE_1)
	s_and_not1_b32 vcc_lo, exec_lo, s1
	s_cbranch_vccnz .LBB29_10
; %bb.7:
	s_and_saveexec_b32 s1, s0
	s_cbranch_execz .LBB29_10
; %bb.8:
	v_ashrrev_i32_e32 v1, 31, v0
	s_mov_b32 s0, s3
	s_mov_b32 s1, s3
	s_ashr_i32 s9, s8, 31
	v_mov_b64_e32 v[4:5], s[0:1]
	v_lshl_add_u64 v[2:3], v[0:1], 3, s[4:5]
	s_lshl_b64 s[0:1], s[8:9], 3
	s_mov_b32 s3, 0
.LBB29_9:                               ; =>This Inner Loop Header: Depth=1
	global_load_b64 v[6:7], v[2:3], off
	v_add_nc_u32_e32 v0, s8, v0
	s_delay_alu instid0(VALU_DEP_1)
	v_cmp_le_i32_e32 vcc_lo, s2, v0
	s_or_b32 s3, vcc_lo, s3
	s_wait_loadcnt 0x0
	v_pk_mul_f32 v[6:7], v[4:5], v[6:7]
	global_store_b64 v[2:3], v[6:7], off
	s_wait_xcnt 0x0
	v_add_nc_u64_e32 v[2:3], s[0:1], v[2:3]
	s_and_not1_b32 exec_lo, exec_lo, s3
	s_cbranch_execnz .LBB29_9
.LBB29_10:
	s_endpgm
	.section	.rodata,"a",@progbits
	.p2align	6, 0x0
	.amdhsa_kernel _ZN9rocsolver6v33100L11scal_kernelIf19rocblas_complex_numIfEiEEvT1_T_PT0_S4_
		.amdhsa_group_segment_fixed_size 0
		.amdhsa_private_segment_fixed_size 0
		.amdhsa_kernarg_size 280
		.amdhsa_user_sgpr_count 2
		.amdhsa_user_sgpr_dispatch_ptr 0
		.amdhsa_user_sgpr_queue_ptr 0
		.amdhsa_user_sgpr_kernarg_segment_ptr 1
		.amdhsa_user_sgpr_dispatch_id 0
		.amdhsa_user_sgpr_kernarg_preload_length 0
		.amdhsa_user_sgpr_kernarg_preload_offset 0
		.amdhsa_user_sgpr_private_segment_size 0
		.amdhsa_wavefront_size32 1
		.amdhsa_uses_dynamic_stack 0
		.amdhsa_enable_private_segment 0
		.amdhsa_system_sgpr_workgroup_id_x 1
		.amdhsa_system_sgpr_workgroup_id_y 0
		.amdhsa_system_sgpr_workgroup_id_z 0
		.amdhsa_system_sgpr_workgroup_info 0
		.amdhsa_system_vgpr_workitem_id 0
		.amdhsa_next_free_vgpr 8
		.amdhsa_next_free_sgpr 12
		.amdhsa_named_barrier_count 0
		.amdhsa_reserve_vcc 1
		.amdhsa_float_round_mode_32 0
		.amdhsa_float_round_mode_16_64 0
		.amdhsa_float_denorm_mode_32 3
		.amdhsa_float_denorm_mode_16_64 3
		.amdhsa_fp16_overflow 0
		.amdhsa_memory_ordered 1
		.amdhsa_forward_progress 1
		.amdhsa_inst_pref_size 4
		.amdhsa_round_robin_scheduling 0
		.amdhsa_exception_fp_ieee_invalid_op 0
		.amdhsa_exception_fp_denorm_src 0
		.amdhsa_exception_fp_ieee_div_zero 0
		.amdhsa_exception_fp_ieee_overflow 0
		.amdhsa_exception_fp_ieee_underflow 0
		.amdhsa_exception_fp_ieee_inexact 0
		.amdhsa_exception_int_div_zero 0
	.end_amdhsa_kernel
	.section	.text._ZN9rocsolver6v33100L11scal_kernelIf19rocblas_complex_numIfEiEEvT1_T_PT0_S4_,"axG",@progbits,_ZN9rocsolver6v33100L11scal_kernelIf19rocblas_complex_numIfEiEEvT1_T_PT0_S4_,comdat
.Lfunc_end29:
	.size	_ZN9rocsolver6v33100L11scal_kernelIf19rocblas_complex_numIfEiEEvT1_T_PT0_S4_, .Lfunc_end29-_ZN9rocsolver6v33100L11scal_kernelIf19rocblas_complex_numIfEiEEvT1_T_PT0_S4_
                                        ; -- End function
	.set _ZN9rocsolver6v33100L11scal_kernelIf19rocblas_complex_numIfEiEEvT1_T_PT0_S4_.num_vgpr, 8
	.set _ZN9rocsolver6v33100L11scal_kernelIf19rocblas_complex_numIfEiEEvT1_T_PT0_S4_.num_agpr, 0
	.set _ZN9rocsolver6v33100L11scal_kernelIf19rocblas_complex_numIfEiEEvT1_T_PT0_S4_.numbered_sgpr, 12
	.set _ZN9rocsolver6v33100L11scal_kernelIf19rocblas_complex_numIfEiEEvT1_T_PT0_S4_.num_named_barrier, 0
	.set _ZN9rocsolver6v33100L11scal_kernelIf19rocblas_complex_numIfEiEEvT1_T_PT0_S4_.private_seg_size, 0
	.set _ZN9rocsolver6v33100L11scal_kernelIf19rocblas_complex_numIfEiEEvT1_T_PT0_S4_.uses_vcc, 1
	.set _ZN9rocsolver6v33100L11scal_kernelIf19rocblas_complex_numIfEiEEvT1_T_PT0_S4_.uses_flat_scratch, 0
	.set _ZN9rocsolver6v33100L11scal_kernelIf19rocblas_complex_numIfEiEEvT1_T_PT0_S4_.has_dyn_sized_stack, 0
	.set _ZN9rocsolver6v33100L11scal_kernelIf19rocblas_complex_numIfEiEEvT1_T_PT0_S4_.has_recursion, 0
	.set _ZN9rocsolver6v33100L11scal_kernelIf19rocblas_complex_numIfEiEEvT1_T_PT0_S4_.has_indirect_call, 0
	.section	.AMDGPU.csdata,"",@progbits
; Kernel info:
; codeLenInByte = 408
; TotalNumSgprs: 14
; NumVgprs: 8
; ScratchSize: 0
; MemoryBound: 0
; FloatMode: 240
; IeeeMode: 1
; LDSByteSize: 0 bytes/workgroup (compile time only)
; SGPRBlocks: 0
; VGPRBlocks: 0
; NumSGPRsForWavesPerEU: 14
; NumVGPRsForWavesPerEU: 8
; NamedBarCnt: 0
; Occupancy: 16
; WaveLimiterHint : 0
; COMPUTE_PGM_RSRC2:SCRATCH_EN: 0
; COMPUTE_PGM_RSRC2:USER_SGPR: 2
; COMPUTE_PGM_RSRC2:TRAP_HANDLER: 0
; COMPUTE_PGM_RSRC2:TGID_X_EN: 1
; COMPUTE_PGM_RSRC2:TGID_Y_EN: 0
; COMPUTE_PGM_RSRC2:TGID_Z_EN: 0
; COMPUTE_PGM_RSRC2:TIDIG_COMP_CNT: 0
	.section	.text._ZN9rocsolver6v33100L17bdsqr_lower2upperI19rocblas_complex_numIfEfPS3_S4_EEviiiPT0_lS6_lT1_iilT2_iilPiS6_lS9_,"axG",@progbits,_ZN9rocsolver6v33100L17bdsqr_lower2upperI19rocblas_complex_numIfEfPS3_S4_EEviiiPT0_lS6_lT1_iilT2_iilPiS6_lS9_,comdat
	.globl	_ZN9rocsolver6v33100L17bdsqr_lower2upperI19rocblas_complex_numIfEfPS3_S4_EEviiiPT0_lS6_lT1_iilT2_iilPiS6_lS9_ ; -- Begin function _ZN9rocsolver6v33100L17bdsqr_lower2upperI19rocblas_complex_numIfEfPS3_S4_EEviiiPT0_lS6_lT1_iilT2_iilPiS6_lS9_
	.p2align	8
	.type	_ZN9rocsolver6v33100L17bdsqr_lower2upperI19rocblas_complex_numIfEfPS3_S4_EEviiiPT0_lS6_lT1_iilT2_iilPiS6_lS9_,@function
_ZN9rocsolver6v33100L17bdsqr_lower2upperI19rocblas_complex_numIfEfPS3_S4_EEviiiPT0_lS6_lT1_iilT2_iilPiS6_lS9_: ; @_ZN9rocsolver6v33100L17bdsqr_lower2upperI19rocblas_complex_numIfEfPS3_S4_EEviiiPT0_lS6_lT1_iilT2_iilPiS6_lS9_
; %bb.0:
	s_load_b64 s[2:3], s[0:1], 0x78
	s_bfe_u32 s4, ttmp6, 0x40010
	s_bfe_u32 s5, ttmp6, 0x40004
	s_add_co_i32 s4, s4, 1
	s_getreg_b32 s6, hwreg(HW_REG_IB_STS2, 6, 4)
	s_mul_i32 s4, ttmp7, s4
	s_delay_alu instid0(SALU_CYCLE_1) | instskip(SKIP_2) | instid1(SALU_CYCLE_1)
	s_add_co_i32 s5, s5, s4
	s_cmp_eq_u32 s6, 0
	s_cselect_b32 s24, ttmp7, s5
	s_ashr_i32 s25, s24, 31
	s_delay_alu instid0(SALU_CYCLE_1)
	s_lshl_b64 s[4:5], s[24:25], 2
	s_wait_kmcnt 0x0
	s_add_nc_u64 s[2:3], s[2:3], s[4:5]
	s_load_b32 s2, s[2:3], 0x8
	s_wait_kmcnt 0x0
	s_cmp_lg_u32 s2, 0
	s_cbranch_scc1 .LBB30_34
; %bb.1:
	s_clause 0x1
	s_load_b256 s[4:11], s[0:1], 0x30
	s_load_b128 s[16:19], s[0:1], 0x68
	s_mov_b64 s[2:3], 0
	s_mov_b64 s[22:23], 0
	s_wait_kmcnt 0x0
	s_cmp_eq_u64 s[4:5], 0
	s_cbranch_scc1 .LBB30_3
; %bb.2:
	s_mul_u64 s[8:9], s[8:9], s[24:25]
	s_ashr_i32 s13, s6, 31
	s_lshl_b64 s[8:9], s[8:9], 3
	s_mov_b32 s12, s6
	s_add_nc_u64 s[4:5], s[4:5], s[8:9]
	s_lshl_b64 s[8:9], s[12:13], 3
	s_delay_alu instid0(SALU_CYCLE_1)
	s_add_nc_u64 s[22:23], s[4:5], s[8:9]
.LBB30_3:
	s_load_b64 s[20:21], s[0:1], 0x50
	s_cmp_eq_u64 s[10:11], 0
	s_cbranch_scc1 .LBB30_5
; %bb.4:
	s_load_b64 s[2:3], s[0:1], 0x58
	s_wait_kmcnt 0x0
	s_ashr_i32 s5, s20, 31
	s_mov_b32 s4, s20
	s_delay_alu instid0(SALU_CYCLE_1) | instskip(SKIP_1) | instid1(SALU_CYCLE_1)
	s_lshl_b64 s[4:5], s[4:5], 3
	s_mul_u64 s[2:3], s[2:3], s[24:25]
	s_lshl_b64 s[2:3], s[2:3], 3
	s_delay_alu instid0(SALU_CYCLE_1) | instskip(NEXT) | instid1(SALU_CYCLE_1)
	s_add_nc_u64 s[2:3], s[10:11], s[2:3]
	s_add_nc_u64 s[2:3], s[2:3], s[4:5]
.LBB30_5:
	s_load_b96 s[4:6], s[0:1], 0x0
	s_mul_u64 s[18:19], s[18:19], s[24:25]
	s_wait_kmcnt 0x0
	s_mov_b32 s20, exec_lo
	v_cmpx_eq_u32_e32 0, v0
	s_cbranch_execz .LBB30_22
; %bb.6:
	s_load_b256 s[8:15], s[0:1], 0x10
	s_add_co_i32 s26, s4, -1
	s_wait_kmcnt 0x0
	s_mul_u64 s[10:11], s[10:11], s[24:25]
	s_delay_alu instid0(SALU_CYCLE_1)
	s_lshl_b64 s[10:11], s[10:11], 2
	s_cmp_lt_i32 s4, 2
	s_add_nc_u64 s[8:9], s[8:9], s[10:11]
	s_load_b32 s10, s[8:9], 0x0
	s_wait_kmcnt 0x0
	v_mov_b32_e32 v3, s10
	s_cbranch_scc1 .LBB30_21
; %bb.7:
	s_mul_u64 s[14:15], s[14:15], s[24:25]
	s_or_b32 s11, s6, s5
	s_lshl_b64 s[14:15], s[14:15], 2
	v_mov_b32_e32 v1, 0
	s_add_nc_u64 s[24:25], s[12:13], s[14:15]
	s_lshl_b64 s[12:13], s[18:19], 2
	s_load_b32 s14, s[24:25], 0x0
	v_mov_b32_e32 v3, s10
	s_cmp_lg_u32 s11, 0
	s_add_nc_u64 s[10:11], s[16:17], s[12:13]
	s_mov_b32 s27, 0
	s_cselect_b32 s28, -1, 0
	s_add_nc_u64 s[12:13], s[10:11], 16
	s_wait_xcnt 0x0
	s_add_nc_u64 s[24:25], s[24:25], 4
	s_wait_kmcnt 0x0
	v_mov_b32_e32 v2, s14
	s_add_nc_u64 s[14:15], s[8:9], 4
	s_branch .LBB30_9
.LBB30_8:                               ;   in Loop: Header=BB30_9 Depth=1
	s_wait_loadcnt 0x0
	v_mul_f32_e32 v3, v5, v3
	s_add_co_i32 s27, s27, 1
	s_wait_xcnt 0x1
	s_add_nc_u64 s[12:13], s[12:13], 4
	s_wait_xcnt 0x0
	s_add_nc_u64 s[14:15], s[14:15], 4
	s_cmp_lg_u32 s26, s27
	s_add_nc_u64 s[24:25], s[24:25], 4
	s_cbranch_scc0 .LBB30_21
.LBB30_9:                               ; =>This Inner Loop Header: Depth=1
	s_delay_alu instid0(VALU_DEP_1)
	v_cmp_eq_f32_e32 vcc_lo, 0, v2
	s_cbranch_vccnz .LBB30_13
; %bb.10:                               ;   in Loop: Header=BB30_9 Depth=1
	v_cmp_neq_f32_e32 vcc_lo, 0, v3
	s_cbranch_vccz .LBB30_14
; %bb.11:                               ;   in Loop: Header=BB30_9 Depth=1
	v_and_b32_e32 v4, 0x7fffffff, v2
	v_and_b32_e32 v5, 0x7fffffff, v3
	s_delay_alu instid0(VALU_DEP_1)
	v_cmp_ngt_f32_e32 vcc_lo, v4, v5
	s_cbranch_vccz .LBB30_15
; %bb.12:                               ;   in Loop: Header=BB30_9 Depth=1
	v_div_scale_f32 v4, null, v3, v3, -v2
	v_div_scale_f32 v7, vcc_lo, -v2, v3, -v2
	s_delay_alu instid0(VALU_DEP_2)
	v_rcp_f32_e32 v5, v4
	v_nop
	v_xor_b32_e32 v4, 0x80000000, v4
	s_delay_alu instid0(TRANS32_DEP_1) | instid1(VALU_DEP_1)
	v_fma_f32 v6, v4, v5, 1.0
	s_delay_alu instid0(VALU_DEP_1) | instskip(NEXT) | instid1(VALU_DEP_1)
	v_fmac_f32_e32 v5, v6, v5
	v_mul_f32_e32 v6, v7, v5
	s_delay_alu instid0(VALU_DEP_1) | instskip(NEXT) | instid1(VALU_DEP_1)
	v_fma_f32 v8, v4, v6, v7
	v_fmac_f32_e32 v6, v8, v5
	s_delay_alu instid0(VALU_DEP_1) | instskip(NEXT) | instid1(VALU_DEP_1)
	v_fmac_f32_e32 v7, v4, v6
	v_div_fmas_f32 v4, v7, v5, v6
	s_delay_alu instid0(VALU_DEP_1) | instskip(NEXT) | instid1(VALU_DEP_1)
	v_div_fixup_f32 v4, v4, v3, -v2
	v_readfirstlane_b32 s29, v4
	s_fmaak_f32 s29, s29, s29, 0x3f800000
	s_delay_alu instid0(SALU_CYCLE_3) | instskip(SKIP_1) | instid1(SALU_CYCLE_2)
	s_mul_f32 s30, s29, 0x4f800000
	s_cmp_lt_f32 s29, 0xf800000
	s_cselect_b32 s30, s30, s29
	s_delay_alu instid0(SALU_CYCLE_1) | instskip(SKIP_1) | instid1(TRANS32_DEP_1)
	v_s_sqrt_f32 s31, s30
	s_mov_b32 s34, s30
	s_add_co_i32 s33, s31, -1
	s_delay_alu instid0(SALU_CYCLE_1) | instskip(NEXT) | instid1(SALU_CYCLE_1)
	s_xor_b32 s35, s33, 0x80000000
	s_fmac_f32 s34, s35, s31
	s_mov_b32 s35, s30
	s_delay_alu instid0(SALU_CYCLE_2) | instskip(SKIP_2) | instid1(SALU_CYCLE_1)
	s_cmp_le_f32 s34, 0
	s_cselect_b32 s33, s33, s31
	s_add_co_i32 s34, s31, 1
	s_xor_b32 s36, s34, 0x80000000
	s_delay_alu instid0(SALU_CYCLE_1) | instskip(SKIP_1) | instid1(SALU_CYCLE_2)
	s_fmac_f32 s35, s36, s31
	v_cmp_class_f32_e64 s31, s30, 0x260
	s_cmp_gt_f32 s35, 0
	s_cselect_b32 s33, s34, s33
	s_cmp_lt_f32 s29, 0xf800000
	s_mul_f32 s29, s33, 0x37800000
	s_delay_alu instid0(SALU_CYCLE_3) | instskip(SKIP_2) | instid1(SALU_CYCLE_1)
	s_cselect_b32 s29, s29, s33
	s_and_b32 s31, s31, exec_lo
	s_cselect_b32 s29, s30, s29
	v_div_scale_f32 v5, null, s29, s29, 1.0
	s_delay_alu instid0(VALU_DEP_1)
	v_rcp_f32_e32 v6, v5
	v_nop
	v_xor_b32_e32 v5, 0x80000000, v5
	s_delay_alu instid0(TRANS32_DEP_1) | instid1(VALU_DEP_1)
	v_fma_f32 v7, v5, v6, 1.0
	s_delay_alu instid0(VALU_DEP_1) | instskip(SKIP_1) | instid1(VALU_DEP_1)
	v_fmac_f32_e32 v6, v7, v6
	v_div_scale_f32 v7, vcc_lo, 1.0, s29, 1.0
	v_mul_f32_e32 v8, v7, v6
	s_delay_alu instid0(VALU_DEP_1) | instskip(NEXT) | instid1(VALU_DEP_1)
	v_fma_f32 v9, v5, v8, v7
	v_fmac_f32_e32 v8, v9, v6
	s_delay_alu instid0(VALU_DEP_1) | instskip(NEXT) | instid1(VALU_DEP_1)
	v_fmac_f32_e32 v7, v5, v8
	v_div_fmas_f32 v5, v7, v6, v8
	s_delay_alu instid0(VALU_DEP_1) | instskip(NEXT) | instid1(VALU_DEP_1)
	v_div_fixup_f32 v5, v5, s29, 1.0
	v_mul_f32_e32 v4, v4, v5
	s_cbranch_execz .LBB30_16
	s_branch .LBB30_17
.LBB30_13:                              ;   in Loop: Header=BB30_9 Depth=1
	v_dual_mov_b32 v5, 1.0 :: v_dual_mov_b32 v4, 0
	s_branch .LBB30_19
.LBB30_14:                              ;   in Loop: Header=BB30_9 Depth=1
	v_xor_b32_e32 v3, 0x80000000, v2
                                        ; implicit-def: $vgpr5
	s_cbranch_execnz .LBB30_18
	s_branch .LBB30_19
.LBB30_15:                              ;   in Loop: Header=BB30_9 Depth=1
                                        ; implicit-def: $vgpr5
.LBB30_16:                              ;   in Loop: Header=BB30_9 Depth=1
	v_div_scale_f32 v4, null, v2, v2, -v3
	v_div_scale_f32 v7, vcc_lo, -v3, v2, -v3
	s_delay_alu instid0(VALU_DEP_2)
	v_rcp_f32_e32 v5, v4
	v_nop
	v_xor_b32_e32 v4, 0x80000000, v4
	s_delay_alu instid0(TRANS32_DEP_1) | instid1(VALU_DEP_1)
	v_fma_f32 v6, v4, v5, 1.0
	s_delay_alu instid0(VALU_DEP_1) | instskip(NEXT) | instid1(VALU_DEP_1)
	v_fmac_f32_e32 v5, v6, v5
	v_mul_f32_e32 v6, v7, v5
	s_delay_alu instid0(VALU_DEP_1) | instskip(NEXT) | instid1(VALU_DEP_1)
	v_fma_f32 v8, v4, v6, v7
	v_fmac_f32_e32 v6, v8, v5
	s_delay_alu instid0(VALU_DEP_1) | instskip(NEXT) | instid1(VALU_DEP_1)
	v_fmac_f32_e32 v7, v4, v6
	v_div_fmas_f32 v4, v7, v5, v6
	s_delay_alu instid0(VALU_DEP_1) | instskip(NEXT) | instid1(VALU_DEP_1)
	v_div_fixup_f32 v5, v4, v2, -v3
	v_readfirstlane_b32 s29, v5
	s_fmaak_f32 s29, s29, s29, 0x3f800000
	s_delay_alu instid0(SALU_CYCLE_3) | instskip(SKIP_1) | instid1(SALU_CYCLE_2)
	s_mul_f32 s30, s29, 0x4f800000
	s_cmp_lt_f32 s29, 0xf800000
	s_cselect_b32 s30, s30, s29
	s_delay_alu instid0(SALU_CYCLE_1) | instskip(SKIP_1) | instid1(TRANS32_DEP_1)
	v_s_sqrt_f32 s31, s30
	s_mov_b32 s34, s30
	s_add_co_i32 s33, s31, -1
	s_delay_alu instid0(SALU_CYCLE_1) | instskip(NEXT) | instid1(SALU_CYCLE_1)
	s_xor_b32 s35, s33, 0x80000000
	s_fmac_f32 s34, s35, s31
	s_mov_b32 s35, s30
	s_delay_alu instid0(SALU_CYCLE_2) | instskip(SKIP_2) | instid1(SALU_CYCLE_1)
	s_cmp_le_f32 s34, 0
	s_cselect_b32 s33, s33, s31
	s_add_co_i32 s34, s31, 1
	s_xor_b32 s36, s34, 0x80000000
	s_delay_alu instid0(SALU_CYCLE_1) | instskip(SKIP_1) | instid1(SALU_CYCLE_2)
	s_fmac_f32 s35, s36, s31
	v_cmp_class_f32_e64 s31, s30, 0x260
	s_cmp_gt_f32 s35, 0
	s_cselect_b32 s33, s34, s33
	s_cmp_lt_f32 s29, 0xf800000
	s_mul_f32 s29, s33, 0x37800000
	s_delay_alu instid0(SALU_CYCLE_3) | instskip(SKIP_2) | instid1(SALU_CYCLE_1)
	s_cselect_b32 s29, s29, s33
	s_and_b32 s31, s31, exec_lo
	s_cselect_b32 s29, s30, s29
	v_div_scale_f32 v4, null, s29, s29, 1.0
	s_delay_alu instid0(VALU_DEP_1)
	v_rcp_f32_e32 v6, v4
	v_nop
	v_xor_b32_e32 v4, 0x80000000, v4
	s_delay_alu instid0(TRANS32_DEP_1) | instid1(VALU_DEP_1)
	v_fma_f32 v7, v4, v6, 1.0
	s_delay_alu instid0(VALU_DEP_1) | instskip(SKIP_1) | instid1(VALU_DEP_1)
	v_fmac_f32_e32 v6, v7, v6
	v_div_scale_f32 v7, vcc_lo, 1.0, s29, 1.0
	v_mul_f32_e32 v8, v7, v6
	s_delay_alu instid0(VALU_DEP_1) | instskip(NEXT) | instid1(VALU_DEP_1)
	v_fma_f32 v9, v4, v8, v7
	v_fmac_f32_e32 v8, v9, v6
	s_delay_alu instid0(VALU_DEP_1) | instskip(NEXT) | instid1(VALU_DEP_1)
	v_fmac_f32_e32 v7, v4, v8
	v_div_fmas_f32 v4, v7, v6, v8
	s_delay_alu instid0(VALU_DEP_1) | instskip(NEXT) | instid1(VALU_DEP_1)
	v_div_fixup_f32 v4, v4, s29, 1.0
	v_mul_f32_e32 v5, v5, v4
.LBB30_17:                              ;   in Loop: Header=BB30_9 Depth=1
	s_delay_alu instid0(VALU_DEP_1) | instskip(NEXT) | instid1(VALU_DEP_1)
	v_pk_mul_f32 v[2:3], v[2:3], v[4:5]
	v_sub_f32_e32 v3, v3, v2
	s_branch .LBB30_19
.LBB30_18:                              ;   in Loop: Header=BB30_9 Depth=1
	v_dual_mov_b32 v4, 1.0 :: v_dual_mov_b32 v5, 0
.LBB30_19:                              ;   in Loop: Header=BB30_9 Depth=1
	global_load_b32 v6, v1, s[14:15]
	v_xor_b32_e32 v7, 0x80000000, v4
	s_clause 0x1
	global_store_b32 v1, v3, s[14:15] offset:-4
	global_load_b32 v2, v1, s[24:25]
	s_and_not1_b32 vcc_lo, exec_lo, s28
	s_wait_loadcnt 0x1
	s_wait_xcnt 0x1
	v_mul_f32_e32 v3, v6, v7
	s_clause 0x1
	global_store_b32 v1, v3, s[24:25] offset:-4
	global_load_b32 v3, v1, s[14:15]
	s_cbranch_vccnz .LBB30_8
; %bb.20:                               ;   in Loop: Header=BB30_9 Depth=1
	s_add_co_i32 s29, s4, s27
	s_delay_alu instid0(SALU_CYCLE_1)
	v_mov_b32_e32 v6, s29
	global_store_b32 v1, v5, s[12:13]
	global_store_b32 v6, v4, s[10:11] offset:16 scale_offset
	s_branch .LBB30_8
.LBB30_21:
	v_mov_b32_e32 v1, s26
	global_store_b32 v1, v3, s[8:9] scale_offset
.LBB30_22:
	s_wait_xcnt 0x0
	s_or_b32 exec_lo, exec_lo, s20
	s_delay_alu instid0(SALU_CYCLE_1)
	s_mov_b32 s20, exec_lo
	s_wait_storecnt 0x0
	s_barrier_signal -1
	s_barrier_wait -1
	v_cmpx_gt_i32_e64 s5, v0
	s_cbranch_execz .LBB30_28
; %bb.23:
	s_load_b32 s26, s[0:1], 0x8c
	s_add_co_i32 s28, s4, -1
	s_cmp_gt_i32 s4, 1
	v_dual_mov_b32 v1, 0 :: v_dual_mov_b32 v2, v0
	s_cselect_b32 s29, -1, 0
	s_lshl_b64 s[24:25], s[18:19], 2
	s_mov_b32 s14, s7
	s_mov_b32 s9, 0
	;; [unrolled: 1-line block ×3, first 2 shown]
	s_mul_i32 s10, s7, s28
	s_ashr_i32 s15, s7, 31
	s_add_nc_u64 s[24:25], s[16:17], s[24:25]
	s_lshl_b64 s[12:13], s[8:9], 2
	s_ashr_i32 s11, s10, 31
	s_lshl_b64 s[14:15], s[14:15], 3
	s_add_nc_u64 s[24:25], s[24:25], 16
	s_wait_kmcnt 0x0
	s_and_b32 s7, s26, 0xffff
	s_branch .LBB30_25
.LBB30_24:                              ;   in Loop: Header=BB30_25 Depth=1
	s_wait_xcnt 0x0
	v_add_nc_u32_e32 v2, s7, v2
	s_delay_alu instid0(VALU_DEP_2) | instskip(NEXT) | instid1(VALU_DEP_2)
	v_lshl_add_u64 v[6:7], s[10:11], 3, v[6:7]
	v_cmp_le_i32_e32 vcc_lo, s5, v2
	s_wait_loadcnt 0x0
	global_store_b64 v[6:7], v[4:5], off
	s_or_b32 s9, vcc_lo, s9
	s_wait_xcnt 0x0
	s_and_not1_b32 exec_lo, exec_lo, s9
	s_cbranch_execz .LBB30_28
.LBB30_25:                              ; =>This Loop Header: Depth=1
                                        ;     Child Loop BB30_27 Depth 2
	global_load_b64 v[4:5], v2, s[22:23] scale_offset
	v_ashrrev_i32_e32 v3, 31, v2
	s_and_not1_b32 vcc_lo, exec_lo, s29
	s_delay_alu instid0(VALU_DEP_1)
	v_lshl_add_u64 v[6:7], v[2:3], 3, s[22:23]
	s_cbranch_vccnz .LBB30_24
; %bb.26:                               ;   in Loop: Header=BB30_25 Depth=1
	s_delay_alu instid0(VALU_DEP_1)
	v_mov_b64_e32 v[8:9], v[6:7]
	s_mov_b32 s8, s28
	s_mov_b64 s[26:27], s[24:25]
.LBB30_27:                              ;   Parent Loop BB30_25 Depth=1
                                        ; =>  This Inner Loop Header: Depth=2
	s_delay_alu instid0(VALU_DEP_1)
	v_add_nc_u64_e32 v[10:11], s[14:15], v[8:9]
	s_add_nc_u64 s[30:31], s[26:27], s[12:13]
	s_add_co_i32 s8, s8, -1
	global_load_b64 v[12:13], v[10:11], off
	s_clause 0x1
	global_load_b32 v14, v1, s[30:31]
	global_load_b32 v16, v1, s[26:27]
	s_cmp_lg_u32 s8, 0
	s_wait_xcnt 0x0
	s_add_nc_u64 s[26:27], s[26:27], 4
	s_wait_loadcnt 0x1
	v_pk_mul_f32 v[18:19], v[12:13], v[14:15] op_sel_hi:[1,0]
	v_pk_mul_f32 v[14:15], v[4:5], v[14:15] op_sel_hi:[1,0]
	s_wait_loadcnt 0x0
	s_delay_alu instid0(VALU_DEP_2) | instskip(NEXT) | instid1(VALU_DEP_2)
	v_pk_fma_f32 v[18:19], v[4:5], v[16:17], v[18:19] op_sel_hi:[1,0,1] neg_lo:[0,0,1] neg_hi:[0,0,1]
	v_pk_fma_f32 v[4:5], v[12:13], v[16:17], v[14:15] op_sel_hi:[1,0,1]
	global_store_b64 v[8:9], v[18:19], off
	s_wait_xcnt 0x0
	v_mov_b64_e32 v[8:9], v[10:11]
	s_cbranch_scc1 .LBB30_27
	s_branch .LBB30_24
.LBB30_28:
	s_or_b32 exec_lo, exec_lo, s20
	s_delay_alu instid0(SALU_CYCLE_1)
	s_mov_b32 s5, exec_lo
	v_cmpx_gt_i32_e64 s6, v0
	s_cbranch_execz .LBB30_34
; %bb.29:
	s_load_b32 s14, s[0:1], 0x8c
	v_mul_lo_u32 v2, v0, s21
	s_wait_xcnt 0x0
	s_add_co_i32 s0, s4, -1
	s_cmp_gt_i32 s4, 1
	s_mov_b32 s5, 0
	s_cselect_b32 s7, -1, 0
	s_lshl_b64 s[12:13], s[18:19], 2
	v_mov_b32_e32 v1, 0
	s_lshl_b64 s[10:11], s[4:5], 2
	s_add_nc_u64 s[12:13], s[16:17], s[12:13]
	s_add_nc_u64 s[8:9], s[2:3], 8
	s_ashr_i32 s1, s0, 31
	s_add_nc_u64 s[12:13], s[12:13], 16
	s_wait_kmcnt 0x0
	s_and_b32 s4, s14, 0xffff
	s_delay_alu instid0(SALU_CYCLE_1)
	s_mul_i32 s16, s21, s4
	s_branch .LBB30_31
.LBB30_30:                              ;   in Loop: Header=BB30_31 Depth=1
	v_dual_ashrrev_i32 v7, 31, v6 :: v_dual_add_nc_u32 v0, s4, v0
	v_add_nc_u32_e32 v2, s16, v2
	s_wait_xcnt 0x0
	s_delay_alu instid0(VALU_DEP_2) | instskip(NEXT) | instid1(VALU_DEP_3)
	v_lshl_add_u64 v[6:7], v[6:7], 3, s[2:3]
	v_cmp_le_i32_e32 vcc_lo, s6, v0
	s_delay_alu instid0(VALU_DEP_2)
	v_lshl_add_u64 v[6:7], s[0:1], 3, v[6:7]
	s_or_b32 s5, vcc_lo, s5
	s_wait_loadcnt 0x0
	global_store_b64 v[6:7], v[4:5], off
	s_wait_xcnt 0x0
	s_and_not1_b32 exec_lo, exec_lo, s5
	s_cbranch_execz .LBB30_34
.LBB30_31:                              ; =>This Loop Header: Depth=1
                                        ;     Child Loop BB30_33 Depth 2
	v_mul_lo_u32 v6, v0, s21
	s_and_not1_b32 vcc_lo, exec_lo, s7
	global_load_b64 v[4:5], v6, s[2:3] scale_offset
	s_cbranch_vccnz .LBB30_30
; %bb.32:                               ;   in Loop: Header=BB30_31 Depth=1
	v_ashrrev_i32_e32 v3, 31, v2
	s_mov_b32 s17, s0
	s_mov_b64 s[14:15], s[12:13]
	s_delay_alu instid0(VALU_DEP_1)
	v_lshl_add_u64 v[8:9], v[2:3], 3, s[8:9]
.LBB30_33:                              ;   Parent Loop BB30_31 Depth=1
                                        ; =>  This Inner Loop Header: Depth=2
	s_add_nc_u64 s[18:19], s[14:15], s[10:11]
	global_load_b64 v[10:11], v[8:9], off
	s_clause 0x1
	global_load_b32 v12, v1, s[14:15]
	global_load_b32 v14, v1, s[18:19]
	s_add_co_i32 s17, s17, -1
	s_wait_xcnt 0x1
	s_add_nc_u64 s[14:15], s[14:15], 4
	s_cmp_lg_u32 s17, 0
	s_wait_loadcnt 0x0
	v_pk_mul_f32 v[16:17], v[10:11], v[14:15] op_sel_hi:[1,0]
	s_delay_alu instid0(VALU_DEP_1)
	v_pk_fma_f32 v[16:17], v[4:5], v[12:13], v[16:17] op_sel_hi:[1,0,1] neg_lo:[0,0,1] neg_hi:[0,0,1]
	v_pk_mul_f32 v[4:5], v[4:5], v[14:15] op_sel_hi:[1,0]
	global_store_b64 v[8:9], v[16:17], off offset:-8
	s_wait_xcnt 0x0
	v_add_nc_u64_e32 v[8:9], 8, v[8:9]
	v_pk_fma_f32 v[4:5], v[10:11], v[12:13], v[4:5] op_sel_hi:[1,0,1]
	s_cbranch_scc1 .LBB30_33
	s_branch .LBB30_30
.LBB30_34:
	s_endpgm
	.section	.rodata,"a",@progbits
	.p2align	6, 0x0
	.amdhsa_kernel _ZN9rocsolver6v33100L17bdsqr_lower2upperI19rocblas_complex_numIfEfPS3_S4_EEviiiPT0_lS6_lT1_iilT2_iilPiS6_lS9_
		.amdhsa_group_segment_fixed_size 0
		.amdhsa_private_segment_fixed_size 0
		.amdhsa_kernarg_size 384
		.amdhsa_user_sgpr_count 2
		.amdhsa_user_sgpr_dispatch_ptr 0
		.amdhsa_user_sgpr_queue_ptr 0
		.amdhsa_user_sgpr_kernarg_segment_ptr 1
		.amdhsa_user_sgpr_dispatch_id 0
		.amdhsa_user_sgpr_kernarg_preload_length 0
		.amdhsa_user_sgpr_kernarg_preload_offset 0
		.amdhsa_user_sgpr_private_segment_size 0
		.amdhsa_wavefront_size32 1
		.amdhsa_uses_dynamic_stack 0
		.amdhsa_enable_private_segment 0
		.amdhsa_system_sgpr_workgroup_id_x 1
		.amdhsa_system_sgpr_workgroup_id_y 1
		.amdhsa_system_sgpr_workgroup_id_z 0
		.amdhsa_system_sgpr_workgroup_info 0
		.amdhsa_system_vgpr_workitem_id 0
		.amdhsa_next_free_vgpr 20
		.amdhsa_next_free_sgpr 37
		.amdhsa_named_barrier_count 0
		.amdhsa_reserve_vcc 1
		.amdhsa_float_round_mode_32 0
		.amdhsa_float_round_mode_16_64 0
		.amdhsa_float_denorm_mode_32 3
		.amdhsa_float_denorm_mode_16_64 3
		.amdhsa_fp16_overflow 0
		.amdhsa_memory_ordered 1
		.amdhsa_forward_progress 1
		.amdhsa_inst_pref_size 18
		.amdhsa_round_robin_scheduling 0
		.amdhsa_exception_fp_ieee_invalid_op 0
		.amdhsa_exception_fp_denorm_src 0
		.amdhsa_exception_fp_ieee_div_zero 0
		.amdhsa_exception_fp_ieee_overflow 0
		.amdhsa_exception_fp_ieee_underflow 0
		.amdhsa_exception_fp_ieee_inexact 0
		.amdhsa_exception_int_div_zero 0
	.end_amdhsa_kernel
	.section	.text._ZN9rocsolver6v33100L17bdsqr_lower2upperI19rocblas_complex_numIfEfPS3_S4_EEviiiPT0_lS6_lT1_iilT2_iilPiS6_lS9_,"axG",@progbits,_ZN9rocsolver6v33100L17bdsqr_lower2upperI19rocblas_complex_numIfEfPS3_S4_EEviiiPT0_lS6_lT1_iilT2_iilPiS6_lS9_,comdat
.Lfunc_end30:
	.size	_ZN9rocsolver6v33100L17bdsqr_lower2upperI19rocblas_complex_numIfEfPS3_S4_EEviiiPT0_lS6_lT1_iilT2_iilPiS6_lS9_, .Lfunc_end30-_ZN9rocsolver6v33100L17bdsqr_lower2upperI19rocblas_complex_numIfEfPS3_S4_EEviiiPT0_lS6_lT1_iilT2_iilPiS6_lS9_
                                        ; -- End function
	.set _ZN9rocsolver6v33100L17bdsqr_lower2upperI19rocblas_complex_numIfEfPS3_S4_EEviiiPT0_lS6_lT1_iilT2_iilPiS6_lS9_.num_vgpr, 20
	.set _ZN9rocsolver6v33100L17bdsqr_lower2upperI19rocblas_complex_numIfEfPS3_S4_EEviiiPT0_lS6_lT1_iilT2_iilPiS6_lS9_.num_agpr, 0
	.set _ZN9rocsolver6v33100L17bdsqr_lower2upperI19rocblas_complex_numIfEfPS3_S4_EEviiiPT0_lS6_lT1_iilT2_iilPiS6_lS9_.numbered_sgpr, 37
	.set _ZN9rocsolver6v33100L17bdsqr_lower2upperI19rocblas_complex_numIfEfPS3_S4_EEviiiPT0_lS6_lT1_iilT2_iilPiS6_lS9_.num_named_barrier, 0
	.set _ZN9rocsolver6v33100L17bdsqr_lower2upperI19rocblas_complex_numIfEfPS3_S4_EEviiiPT0_lS6_lT1_iilT2_iilPiS6_lS9_.private_seg_size, 0
	.set _ZN9rocsolver6v33100L17bdsqr_lower2upperI19rocblas_complex_numIfEfPS3_S4_EEviiiPT0_lS6_lT1_iilT2_iilPiS6_lS9_.uses_vcc, 1
	.set _ZN9rocsolver6v33100L17bdsqr_lower2upperI19rocblas_complex_numIfEfPS3_S4_EEviiiPT0_lS6_lT1_iilT2_iilPiS6_lS9_.uses_flat_scratch, 0
	.set _ZN9rocsolver6v33100L17bdsqr_lower2upperI19rocblas_complex_numIfEfPS3_S4_EEviiiPT0_lS6_lT1_iilT2_iilPiS6_lS9_.has_dyn_sized_stack, 0
	.set _ZN9rocsolver6v33100L17bdsqr_lower2upperI19rocblas_complex_numIfEfPS3_S4_EEviiiPT0_lS6_lT1_iilT2_iilPiS6_lS9_.has_recursion, 0
	.set _ZN9rocsolver6v33100L17bdsqr_lower2upperI19rocblas_complex_numIfEfPS3_S4_EEviiiPT0_lS6_lT1_iilT2_iilPiS6_lS9_.has_indirect_call, 0
	.section	.AMDGPU.csdata,"",@progbits
; Kernel info:
; codeLenInByte = 2192
; TotalNumSgprs: 39
; NumVgprs: 20
; ScratchSize: 0
; MemoryBound: 0
; FloatMode: 240
; IeeeMode: 1
; LDSByteSize: 0 bytes/workgroup (compile time only)
; SGPRBlocks: 0
; VGPRBlocks: 1
; NumSGPRsForWavesPerEU: 39
; NumVGPRsForWavesPerEU: 20
; NamedBarCnt: 0
; Occupancy: 16
; WaveLimiterHint : 0
; COMPUTE_PGM_RSRC2:SCRATCH_EN: 0
; COMPUTE_PGM_RSRC2:USER_SGPR: 2
; COMPUTE_PGM_RSRC2:TRAP_HANDLER: 0
; COMPUTE_PGM_RSRC2:TGID_X_EN: 1
; COMPUTE_PGM_RSRC2:TGID_Y_EN: 1
; COMPUTE_PGM_RSRC2:TGID_Z_EN: 0
; COMPUTE_PGM_RSRC2:TIDIG_COMP_CNT: 0
	.section	.text._ZN9rocsolver6v33100L13bdsqr_computeILi256E19rocblas_complex_numIfEfPS3_S4_S4_EEviiiiPT1_lS6_lT2_iilT3_iilT4_iiliS5_S5_S5_S5_PiS6_ilSA_,"axG",@progbits,_ZN9rocsolver6v33100L13bdsqr_computeILi256E19rocblas_complex_numIfEfPS3_S4_S4_EEviiiiPT1_lS6_lT2_iilT3_iilT4_iiliS5_S5_S5_S5_PiS6_ilSA_,comdat
	.globl	_ZN9rocsolver6v33100L13bdsqr_computeILi256E19rocblas_complex_numIfEfPS3_S4_S4_EEviiiiPT1_lS6_lT2_iilT3_iilT4_iiliS5_S5_S5_S5_PiS6_ilSA_ ; -- Begin function _ZN9rocsolver6v33100L13bdsqr_computeILi256E19rocblas_complex_numIfEfPS3_S4_S4_EEviiiiPT1_lS6_lT2_iilT3_iilT4_iiliS5_S5_S5_S5_PiS6_ilSA_
	.p2align	8
	.type	_ZN9rocsolver6v33100L13bdsqr_computeILi256E19rocblas_complex_numIfEfPS3_S4_S4_EEviiiiPT1_lS6_lT2_iilT3_iilT4_iiliS5_S5_S5_S5_PiS6_ilSA_,@function
_ZN9rocsolver6v33100L13bdsqr_computeILi256E19rocblas_complex_numIfEfPS3_S4_S4_EEviiiiPT1_lS6_lT2_iilT3_iilT4_iiliS5_S5_S5_S5_PiS6_ilSA_: ; @_ZN9rocsolver6v33100L13bdsqr_computeILi256E19rocblas_complex_numIfEfPS3_S4_S4_EEviiiiPT1_lS6_lT2_iilT3_iilT4_iiliS5_S5_S5_S5_PiS6_ilSA_
; %bb.0:
	s_load_b128 s[4:7], s[0:1], 0xa8
	s_bfe_u32 s2, ttmp6, 0x40014
	s_lshr_b32 s3, ttmp7, 16
	s_add_co_i32 s2, s2, 1
	s_bfe_u32 s9, ttmp6, 0x40008
	s_mul_i32 s8, s3, s2
	s_getreg_b32 s2, hwreg(HW_REG_IB_STS2, 6, 4)
	s_add_co_i32 s9, s9, s8
	s_cmp_eq_u32 s2, 0
	s_mov_b32 s47, 0
	s_cselect_b32 s46, s3, s9
	s_wait_kmcnt 0x0
	s_load_b32 s3, s[6:7], s46 offset:0x8 scale_offset
	s_wait_kmcnt 0x0
	s_cmp_lg_u32 s3, 0
	s_cbranch_scc1 .LBB31_171
; %bb.1:
	s_load_b256 s[8:15], s[0:1], 0x30
	s_mov_b64 s[28:29], 0
	s_mov_b64 s[30:31], 0
	s_wait_kmcnt 0x0
	s_cmp_eq_u64 s[8:9], 0
	s_cbranch_scc1 .LBB31_3
; %bb.2:
	s_mul_u64 s[6:7], s[12:13], s[46:47]
	s_ashr_i32 s13, s10, 31
	s_lshl_b64 s[6:7], s[6:7], 3
	s_mov_b32 s12, s10
	s_add_nc_u64 s[6:7], s[8:9], s[6:7]
	s_lshl_b64 s[8:9], s[12:13], 3
	s_delay_alu instid0(SALU_CYCLE_1)
	s_add_nc_u64 s[30:31], s[6:7], s[8:9]
.LBB31_3:
	s_clause 0x1
	s_load_b64 s[8:9], s[0:1], 0x50
	s_load_b128 s[16:19], s[0:1], 0x58
	s_cmp_eq_u64 s[14:15], 0
	s_cbranch_scc1 .LBB31_5
; %bb.4:
	s_wait_kmcnt 0x0
	s_mul_u64 s[6:7], s[16:17], s[46:47]
	s_ashr_i32 s13, s8, 31
	s_lshl_b64 s[6:7], s[6:7], 3
	s_mov_b32 s12, s8
	s_add_nc_u64 s[6:7], s[14:15], s[6:7]
	s_lshl_b64 s[12:13], s[12:13], 3
	s_delay_alu instid0(SALU_CYCLE_1)
	s_add_nc_u64 s[28:29], s[6:7], s[12:13]
.LBB31_5:
	s_load_b64 s[34:35], s[0:1], 0x68
	s_wait_kmcnt 0x0
	s_cmp_eq_u64 s[18:19], 0
	s_mov_b64 s[36:37], 0
	s_cbranch_scc1 .LBB31_7
; %bb.6:
	s_load_b64 s[6:7], s[0:1], 0x70
	s_ashr_i32 s13, s34, 31
	s_mov_b32 s12, s34
	s_delay_alu instid0(SALU_CYCLE_1) | instskip(SKIP_2) | instid1(SALU_CYCLE_1)
	s_lshl_b64 s[12:13], s[12:13], 3
	s_wait_kmcnt 0x0
	s_mul_u64 s[6:7], s[6:7], s[46:47]
	s_lshl_b64 s[6:7], s[6:7], 3
	s_delay_alu instid0(SALU_CYCLE_1) | instskip(NEXT) | instid1(SALU_CYCLE_1)
	s_add_nc_u64 s[6:7], s[18:19], s[6:7]
	s_add_nc_u64 s[36:37], s[6:7], s[12:13]
.LBB31_7:
	s_load_b128 s[24:27], s[0:1], 0x90
	s_bfe_u32 s3, ttmp6, 0x40010
	s_and_b32 s6, ttmp7, 0xffff
	s_add_co_i32 s3, s3, 1
	s_bfe_u32 s7, ttmp6, 0x40004
	s_mul_i32 s3, s6, s3
	s_delay_alu instid0(SALU_CYCLE_1)
	s_add_co_i32 s7, s7, s3
	s_cmp_eq_u32 s2, 0
	s_mul_u64 s[2:3], s[4:5], s[46:47]
	s_cselect_b32 s8, s6, s7
	s_lshl_b64 s[2:3], s[2:3], 2
	s_wait_kmcnt 0x0
	s_add_nc_u64 s[26:27], s[26:27], s[2:3]
	s_load_b32 s2, s[26:27], 0x8
	s_wait_kmcnt 0x0
	s_cvt_i32_f32 s10, s2
	s_delay_alu instid0(SALU_CYCLE_3)
	s_cmp_ge_i32 s8, s10
	s_cbranch_scc1 .LBB31_171
; %bb.8:
	s_clause 0x1
	s_load_b128 s[20:23], s[0:1], 0x0
	s_load_b256 s[12:19], s[0:1], 0x10
	s_add_nc_u64 s[38:39], s[0:1], 0xb8
	s_clause 0x3
	s_load_b64 s[40:41], s[0:1], 0x78
	s_load_b64 s[42:43], s[0:1], 0x84
	s_load_b32 s33, s[0:1], 0xa0
	s_load_b32 s34, s[0:1], 0xbc
                                        ; implicit-def: $vgpr32 : SGPR spill to VGPR lane
	v_dual_mov_b32 v3, 0 :: v_dual_lshlrev_b32 v2, 2, v0
	v_mul_lo_u32 v1, v0, s11
	v_mul_lo_u32 v20, v0, s35
	v_cmp_gt_u32_e64 s2, 0x80, v0
	v_cmp_gt_u32_e64 s3, 64, v0
	;; [unrolled: 1-line block ×3, first 2 shown]
	v_cmp_eq_u32_e64 s5, 0, v0
	v_mov_b32_e32 v21, 1
	s_add_nc_u64 s[44:45], s[26:27], 12
	s_wait_kmcnt 0x0
	s_mul_i32 s6, s46, s20
	s_mul_u64 s[0:1], s[14:15], s[46:47]
	s_lshl_b32 s6, s6, 1
	s_mul_u64 s[14:15], s[18:19], s[46:47]
	s_ashr_i32 s7, s6, 31
	s_lshl_b64 s[18:19], s[0:1], 2
	v_writelane_b32 v32, s14, 0
	s_lshl_b64 s[46:47], s[14:15], 2
	s_lshl_b64 s[48:49], s[6:7], 2
	s_cmp_lg_u32 s21, 0
	s_add_nc_u64 s[12:13], s[12:13], s[18:19]
	s_cselect_b32 s20, -1, 0
	s_or_b32 s0, s23, s22
	v_writelane_b32 v32, s15, 1
	s_cmp_eq_u32 s0, 0
	v_cmp_gt_i32_e64 s0, s21, v0
	s_add_nc_u64 s[14:15], s[12:13], -4
	s_cselect_b32 s102, -1, 0
	s_cmp_lg_u64 s[30:31], 0
	s_add_nc_u64 s[18:19], s[16:17], s[46:47]
	v_writelane_b32 v32, s0, 2
	s_cselect_b32 s7, -1, 0
	v_add_nc_u64_e32 v[4:5], s[12:13], v[2:3]
	s_and_b32 s103, s20, s7
	s_cmp_lg_u64 s[28:29], 0
	v_writelane_b32 v32, s14, 3
	s_cselect_b32 s7, -1, 0
	s_cmp_lg_u32 s22, 0
	v_add_nc_u64_e32 v[6:7], s[18:19], v[2:3]
	s_cselect_b32 s46, -1, 0
	v_writelane_b32 v32, s15, 4
	s_add_nc_u64 s[14:15], s[16:17], -4
	s_and_b32 s104, s46, s7
	s_cmp_lg_u64 s[36:37], 0
	v_cmp_gt_i32_e64 s1, s22, v0
	v_writelane_b32 v32, s14, 5
	s_cselect_b32 s7, -1, 0
	s_cmp_lg_u32 s23, 0
	v_cmp_gt_i32_e64 s6, s23, v0
	s_cselect_b32 s46, -1, 0
	v_writelane_b32 v32, s15, 6
	s_add_nc_u64 s[14:15], s[18:19], -4
	s_add_nc_u64 s[24:25], s[24:25], s[48:49]
	s_and_b32 vcc_hi, s46, s7
	v_writelane_b32 v32, s14, 7
	v_writelane_b32 v32, s15, 8
	s_branch .LBB31_11
.LBB31_9:                               ;   in Loop: Header=BB31_11 Depth=1
	s_or_b32 exec_lo, exec_lo, s7
.LBB31_10:                              ;   in Loop: Header=BB31_11 Depth=1
	s_add_co_i32 s8, s34, s8
	s_delay_alu instid0(SALU_CYCLE_1)
	s_cmp_lt_i32 s8, s10
	s_cbranch_scc0 .LBB31_171
.LBB31_11:                              ; =>This Loop Header: Depth=1
                                        ;     Child Loop BB31_15 Depth 2
                                        ;     Child Loop BB31_40 Depth 2
	;; [unrolled: 1-line block ×5, first 2 shown]
                                        ;       Child Loop BB31_155 Depth 3
                                        ;     Child Loop BB31_160 Depth 2
                                        ;       Child Loop BB31_161 Depth 3
                                        ;     Child Loop BB31_166 Depth 2
                                        ;       Child Loop BB31_167 Depth 3
	s_lshl_b32 s16, s8, 2
	s_delay_alu instid0(SALU_CYCLE_1) | instskip(NEXT) | instid1(SALU_CYCLE_1)
	s_ashr_i32 s17, s16, 31
	s_lshl_b64 s[16:17], s[16:17], 2
	s_wait_xcnt 0x0
	s_add_nc_u64 s[60:61], s[24:25], s[16:17]
	global_load_b64 v[8:9], v3, s[60:61] offset:4
	s_wait_loadcnt 0x0
	v_readfirstlane_b32 s52, v9
	v_readfirstlane_b32 s54, v8
	s_cmp_le_i32 s52, s54
	s_cbranch_scc1 .LBB31_10
; %bb.12:                               ;   in Loop: Header=BB31_11 Depth=1
	global_load_b32 v8, v3, s[60:61] offset:12
	s_wait_loadcnt 0x0
	v_cmp_le_i32_e32 vcc_lo, s40, v8
	s_cbranch_vccnz .LBB31_10
; %bb.13:                               ;   in Loop: Header=BB31_11 Depth=1
	v_mov_b32_e32 v10, 0
	s_sub_co_i32 s50, s52, s54
	s_ashr_i32 s55, s54, 31
	s_mov_b32 s7, exec_lo
	s_wait_xcnt 0x0
	v_cmpx_ge_i32_e64 s50, v0
	s_cbranch_execz .LBB31_17
; %bb.14:                               ;   in Loop: Header=BB31_11 Depth=1
	v_lshl_add_u64 v[8:9], s[54:55], 2, v[4:5]
	v_dual_mov_b32 v10, 0 :: v_dual_mov_b32 v11, v0
	s_mov_b32 s16, 0
.LBB31_15:                              ;   Parent Loop BB31_11 Depth=1
                                        ; =>  This Inner Loop Header: Depth=2
	global_load_b32 v12, v[8:9], off
	v_add_nc_u32_e32 v11, 0x100, v11
	s_wait_xcnt 0x0
	v_add_nc_u64_e32 v[8:9], 0x400, v[8:9]
	s_delay_alu instid0(VALU_DEP_2) | instskip(SKIP_3) | instid1(VALU_DEP_1)
	v_cmp_lt_i32_e32 vcc_lo, s50, v11
	s_or_b32 s16, vcc_lo, s16
	s_wait_loadcnt 0x0
	v_cmp_lt_f32_e64 s17, v10, |v12|
	v_cndmask_b32_e64 v10, v10, |v12|, s17
	s_and_not1_b32 exec_lo, exec_lo, s16
	s_cbranch_execnz .LBB31_15
; %bb.16:                               ;   in Loop: Header=BB31_11 Depth=1
	s_or_b32 exec_lo, exec_lo, s16
.LBB31_17:                              ;   in Loop: Header=BB31_11 Depth=1
	s_delay_alu instid0(SALU_CYCLE_1)
	s_or_b32 exec_lo, exec_lo, s7
	ds_store_b32 v2, v10
	s_wait_dscnt 0x0
	s_barrier_signal -1
	s_barrier_wait -1
	s_and_saveexec_b32 s7, s2
	s_cbranch_execz .LBB31_21
; %bb.18:                               ;   in Loop: Header=BB31_11 Depth=1
	ds_load_b32 v8, v2 offset:512
	s_mov_b32 s16, exec_lo
	s_wait_dscnt 0x0
	v_cmpx_lt_f32_e32 v10, v8
; %bb.19:                               ;   in Loop: Header=BB31_11 Depth=1
	v_mov_b32_e32 v10, v8
	ds_store_b32 v2, v8
; %bb.20:                               ;   in Loop: Header=BB31_11 Depth=1
	s_or_b32 exec_lo, exec_lo, s16
.LBB31_21:                              ;   in Loop: Header=BB31_11 Depth=1
	s_delay_alu instid0(SALU_CYCLE_1)
	s_or_b32 exec_lo, exec_lo, s7
	s_wait_dscnt 0x0
	s_barrier_signal -1
	s_barrier_wait -1
	s_and_saveexec_b32 s7, s3
	s_cbranch_execz .LBB31_25
; %bb.22:                               ;   in Loop: Header=BB31_11 Depth=1
	ds_load_b32 v8, v2 offset:256
	s_mov_b32 s16, exec_lo
	s_wait_dscnt 0x0
	v_cmpx_lt_f32_e32 v10, v8
; %bb.23:                               ;   in Loop: Header=BB31_11 Depth=1
	v_mov_b32_e32 v10, v8
	ds_store_b32 v2, v8
; %bb.24:                               ;   in Loop: Header=BB31_11 Depth=1
	s_or_b32 exec_lo, exec_lo, s16
.LBB31_25:                              ;   in Loop: Header=BB31_11 Depth=1
	s_delay_alu instid0(SALU_CYCLE_1)
	s_or_b32 exec_lo, exec_lo, s7
	s_wait_dscnt 0x0
	s_barrier_signal -1
	s_barrier_wait -1
	s_and_saveexec_b32 s7, s4
	s_cbranch_execz .LBB31_38
; %bb.26:                               ;   in Loop: Header=BB31_11 Depth=1
	ds_load_b32 v8, v2 offset:128
	s_mov_b32 s16, exec_lo
	s_wait_dscnt 0x0
	v_cmpx_lt_f32_e32 v10, v8
; %bb.27:                               ;   in Loop: Header=BB31_11 Depth=1
	v_mov_b32_e32 v10, v8
	ds_store_b32 v2, v8
; %bb.28:                               ;   in Loop: Header=BB31_11 Depth=1
	s_or_b32 exec_lo, exec_lo, s16
	ds_load_b32 v8, v2 offset:64
	s_mov_b32 s16, exec_lo
	s_wait_dscnt 0x0
	v_cmpx_lt_f32_e32 v10, v8
; %bb.29:                               ;   in Loop: Header=BB31_11 Depth=1
	v_mov_b32_e32 v10, v8
	ds_store_b32 v2, v8
; %bb.30:                               ;   in Loop: Header=BB31_11 Depth=1
	s_or_b32 exec_lo, exec_lo, s16
	;; [unrolled: 9-line block ×5, first 2 shown]
	ds_load_b32 v8, v2 offset:4
	s_wait_dscnt 0x0
	v_cmp_lt_f32_e32 vcc_lo, v10, v8
	s_and_b32 exec_lo, exec_lo, vcc_lo
; %bb.37:                               ;   in Loop: Header=BB31_11 Depth=1
	ds_store_b32 v2, v8
.LBB31_38:                              ;   in Loop: Header=BB31_11 Depth=1
	s_or_b32 exec_lo, exec_lo, s7
	v_mov_b32_e32 v10, 0
	s_mov_b32 s7, exec_lo
	s_wait_dscnt 0x0
	s_barrier_signal -1
	s_barrier_wait -1
	v_cmpx_gt_i32_e64 s50, v0
	s_cbranch_execz .LBB31_42
; %bb.39:                               ;   in Loop: Header=BB31_11 Depth=1
	v_lshl_add_u64 v[8:9], s[54:55], 2, v[6:7]
	v_dual_mov_b32 v10, 0 :: v_dual_mov_b32 v11, v0
	s_mov_b32 s16, 0
.LBB31_40:                              ;   Parent Loop BB31_11 Depth=1
                                        ; =>  This Inner Loop Header: Depth=2
	global_load_b32 v12, v[8:9], off
	v_add_nc_u32_e32 v11, 0x100, v11
	s_wait_xcnt 0x0
	v_add_nc_u64_e32 v[8:9], 0x400, v[8:9]
	s_delay_alu instid0(VALU_DEP_2) | instskip(SKIP_3) | instid1(VALU_DEP_1)
	v_cmp_le_i32_e32 vcc_lo, s50, v11
	s_or_b32 s16, vcc_lo, s16
	s_wait_loadcnt 0x0
	v_cmp_lt_f32_e64 s17, v10, |v12|
	v_cndmask_b32_e64 v10, v10, |v12|, s17
	s_and_not1_b32 exec_lo, exec_lo, s16
	s_cbranch_execnz .LBB31_40
; %bb.41:                               ;   in Loop: Header=BB31_11 Depth=1
	s_or_b32 exec_lo, exec_lo, s16
.LBB31_42:                              ;   in Loop: Header=BB31_11 Depth=1
	s_delay_alu instid0(SALU_CYCLE_1)
	s_or_b32 exec_lo, exec_lo, s7
	s_cmp_lt_i32 s50, 2
	ds_store_b32 v2, v10 offset:4
	s_wait_dscnt 0x0
	s_barrier_signal -1
	s_barrier_wait -1
	s_cbranch_scc1 .LBB31_65
; %bb.43:                               ;   in Loop: Header=BB31_11 Depth=1
	s_and_saveexec_b32 s7, s2
	s_cbranch_execz .LBB31_47
; %bb.44:                               ;   in Loop: Header=BB31_11 Depth=1
	ds_load_b32 v8, v2 offset:516
	s_mov_b32 s16, exec_lo
	s_wait_dscnt 0x0
	v_cmpx_lt_f32_e32 v10, v8
; %bb.45:                               ;   in Loop: Header=BB31_11 Depth=1
	v_mov_b32_e32 v10, v8
	ds_store_b32 v2, v8 offset:4
; %bb.46:                               ;   in Loop: Header=BB31_11 Depth=1
	s_or_b32 exec_lo, exec_lo, s16
.LBB31_47:                              ;   in Loop: Header=BB31_11 Depth=1
	s_delay_alu instid0(SALU_CYCLE_1)
	s_or_b32 exec_lo, exec_lo, s7
	s_wait_dscnt 0x0
	s_barrier_signal -1
	s_barrier_wait -1
	s_and_saveexec_b32 s7, s3
	s_cbranch_execz .LBB31_51
; %bb.48:                               ;   in Loop: Header=BB31_11 Depth=1
	ds_load_b32 v8, v2 offset:260
	s_mov_b32 s16, exec_lo
	s_wait_dscnt 0x0
	v_cmpx_lt_f32_e32 v10, v8
; %bb.49:                               ;   in Loop: Header=BB31_11 Depth=1
	v_mov_b32_e32 v10, v8
	ds_store_b32 v2, v8 offset:4
; %bb.50:                               ;   in Loop: Header=BB31_11 Depth=1
	s_or_b32 exec_lo, exec_lo, s16
.LBB31_51:                              ;   in Loop: Header=BB31_11 Depth=1
	s_delay_alu instid0(SALU_CYCLE_1)
	s_or_b32 exec_lo, exec_lo, s7
	s_wait_dscnt 0x0
	s_barrier_signal -1
	s_barrier_wait -1
	s_and_saveexec_b32 s7, s4
	s_cbranch_execz .LBB31_64
; %bb.52:                               ;   in Loop: Header=BB31_11 Depth=1
	ds_load_b32 v8, v2 offset:132
	s_mov_b32 s16, exec_lo
	s_wait_dscnt 0x0
	v_cmpx_lt_f32_e32 v10, v8
; %bb.53:                               ;   in Loop: Header=BB31_11 Depth=1
	v_mov_b32_e32 v10, v8
	ds_store_b32 v2, v8 offset:4
; %bb.54:                               ;   in Loop: Header=BB31_11 Depth=1
	s_or_b32 exec_lo, exec_lo, s16
	ds_load_b32 v8, v2 offset:68
	s_mov_b32 s16, exec_lo
	s_wait_dscnt 0x0
	v_cmpx_lt_f32_e32 v10, v8
; %bb.55:                               ;   in Loop: Header=BB31_11 Depth=1
	v_mov_b32_e32 v10, v8
	ds_store_b32 v2, v8 offset:4
; %bb.56:                               ;   in Loop: Header=BB31_11 Depth=1
	s_or_b32 exec_lo, exec_lo, s16
	;; [unrolled: 9-line block ×5, first 2 shown]
	ds_load_b32 v8, v2 offset:8
	s_wait_dscnt 0x0
	v_cmp_lt_f32_e32 vcc_lo, v10, v8
	s_and_b32 exec_lo, exec_lo, vcc_lo
; %bb.63:                               ;   in Loop: Header=BB31_11 Depth=1
	ds_store_b32 v2, v8 offset:4
.LBB31_64:                              ;   in Loop: Header=BB31_11 Depth=1
	s_or_b32 exec_lo, exec_lo, s7
.LBB31_65:                              ;   in Loop: Header=BB31_11 Depth=1
	s_lshl_b64 s[56:57], s[54:55], 2
	s_wait_dscnt 0x0
	s_add_nc_u64 s[64:65], s[18:19], s[56:57]
	s_add_nc_u64 s[72:73], s[12:13], s[56:57]
	s_barrier_signal -1
	s_barrier_wait -1
	s_and_saveexec_b32 s7, s5
	s_cbranch_execz .LBB31_79
; %bb.66:                               ;   in Loop: Header=BB31_11 Depth=1
	v_mov_b32_e32 v8, s52
	s_mov_b32 s53, 0
	s_clause 0x1
	global_load_b32 v9, v3, s[72:73]
	global_load_b32 v8, v8, s[12:13] scale_offset
	s_wait_loadcnt 0x1
	v_readfirstlane_b32 s16, v9
	s_wait_loadcnt 0x0
	v_readfirstlane_b32 s17, v8
	s_bitset0_b32 s16, 31
	s_bitset0_b32 s17, 31
	s_delay_alu instid0(SALU_CYCLE_1)
	s_cmp_ge_f32 s16, s17
	s_cselect_b32 s46, -1, 0
	s_ashr_i32 s51, s50, 31
	s_wait_xcnt 0x0
	v_cndmask_b32_e64 v8, 0, 1, s46
	s_lshl_b64 s[58:59], s[50:51], 2
	s_and_b32 s47, s46, exec_lo
	s_add_nc_u64 s[58:59], s[72:73], s[58:59]
	s_delay_alu instid0(SALU_CYCLE_1)
	s_cselect_b32 s59, s73, s59
	s_cselect_b32 s58, s72, s58
	s_not_b32 s51, s54
	global_load_b32 v9, v3, s[58:59]
	s_add_co_i32 s51, s51, s52
	ds_store_b32 v3, v8 offset:1028
	s_wait_loadcnt 0x0
	v_readfirstlane_b32 s47, v9
	s_bitset0_b32 s47, 31
	s_wait_xcnt 0x0
	s_mov_b32 s59, s47
	s_branch .LBB31_68
.LBB31_67:                              ;   in Loop: Header=BB31_68 Depth=2
	s_and_not1_b32 vcc_lo, exec_lo, s63
	s_cbranch_vccz .LBB31_70
.LBB31_68:                              ;   Parent Loop BB31_11 Depth=1
                                        ; =>  This Inner Loop Header: Depth=2
	s_and_b32 s58, s46, exec_lo
	s_cselect_b32 s58, s53, s51
	s_mul_f32 s62, s42, s59
	v_mov_b32_e32 v8, s58
	s_mov_b32 s63, -1
	global_load_b32 v8, v8, s[64:65] scale_offset
	s_wait_loadcnt 0x0
	s_wait_xcnt 0x0
	v_and_b32_e32 v8, 0x7fffffff, v8
	s_delay_alu instid0(VALU_DEP_1)
	v_cmp_nge_f32_e32 vcc_lo, s62, v8
	s_mov_b32 s62, -1
	s_cbranch_vccz .LBB31_67
; %bb.69:                               ;   in Loop: Header=BB31_68 Depth=2
	s_add_co_i32 s53, s53, 1
	s_and_b32 s62, s46, exec_lo
	s_cselect_b32 s62, s53, s51
	s_delay_alu instid0(SALU_CYCLE_1) | instskip(NEXT) | instid1(VALU_DEP_1)
	v_dual_add_f32 v8, s59, v8 :: v_dual_mov_b32 v9, s62
	v_div_scale_f32 v10, null, v8, v8, s59
	global_load_b32 v9, v9, s[72:73] scale_offset
	v_div_scale_f32 v13, vcc_lo, s59, v8, s59
	v_rcp_f32_e32 v11, v10
	v_nop
	v_xor_b32_e32 v10, 0x80000000, v10
	s_delay_alu instid0(TRANS32_DEP_1) | instid1(VALU_DEP_1)
	v_fma_f32 v12, v10, v11, 1.0
	s_delay_alu instid0(VALU_DEP_1) | instskip(NEXT) | instid1(VALU_DEP_1)
	v_fmac_f32_e32 v11, v12, v11
	v_mul_f32_e32 v12, v13, v11
	s_delay_alu instid0(VALU_DEP_1) | instskip(NEXT) | instid1(VALU_DEP_1)
	v_fma_f32 v14, v10, v12, v13
	v_fmac_f32_e32 v12, v14, v11
	s_delay_alu instid0(VALU_DEP_1) | instskip(NEXT) | instid1(VALU_DEP_1)
	v_fmac_f32_e32 v13, v10, v12
	v_div_fmas_f32 v10, v13, v11, v12
	s_delay_alu instid0(VALU_DEP_1) | instskip(NEXT) | instid1(VALU_DEP_1)
	v_div_fixup_f32 v8, v10, v8, s59
	v_readfirstlane_b32 s62, v8
	s_wait_loadcnt 0x0
	v_readfirstlane_b32 s59, v9
	s_bitset0_b32 s59, 31
	s_delay_alu instid0(SALU_CYCLE_1) | instskip(SKIP_1) | instid1(SALU_CYCLE_2)
	s_mul_f32 s59, s62, s59
	s_mov_b32 s62, 0
	s_cmp_lt_f32 s59, s47
	s_cselect_b32 s47, s59, s47
	s_add_co_i32 s51, s51, -1
	s_delay_alu instid0(SALU_CYCLE_1)
	s_cmp_eq_u32 s51, -1
	s_cselect_b32 s63, -1, 0
	s_branch .LBB31_67
.LBB31_70:                              ;   in Loop: Header=BB31_11 Depth=1
	s_and_b32 vcc_lo, exec_lo, s62
	s_cbranch_vccz .LBB31_72
; %bb.71:                               ;   in Loop: Header=BB31_11 Depth=1
	s_ashr_i32 s59, s58, 31
	s_mov_b32 s47, -1.0
	s_lshl_b64 s[58:59], s[58:59], 2
	s_delay_alu instid0(SALU_CYCLE_1)
	s_add_nc_u64 s[58:59], s[64:65], s[58:59]
	global_store_b32 v3, v3, s[58:59]
.LBB31_72:                              ;   in Loop: Header=BB31_11 Depth=1
	v_mov_b32_e32 v8, s47
	s_cmp_nge_f32 s47, 0
	ds_store_b32 v3, v8 offset:1032
	ds_store_b8 v3, v3 offset:1036
	s_cbranch_scc1 .LBB31_79
; %bb.73:                               ;   in Loop: Header=BB31_11 Depth=1
	s_wait_xcnt 0x0
	ds_load_b64 v[8:9], v3
	s_mov_b32 s51, -1
	s_wait_dscnt 0x0
	v_cmp_lt_f32_e32 vcc_lo, v8, v9
	v_cndmask_b32_e32 v8, v8, v9, vcc_lo
	s_delay_alu instid0(VALU_DEP_1) | instskip(NEXT) | instid1(VALU_DEP_1)
	v_div_scale_f32 v9, null, v8, v8, s47
	v_rcp_f32_e32 v10, v9
	v_nop
	v_xor_b32_e32 v9, 0x80000000, v9
	s_delay_alu instid0(TRANS32_DEP_1) | instid1(VALU_DEP_1)
	v_fma_f32 v11, v9, v10, 1.0
	s_delay_alu instid0(VALU_DEP_1) | instskip(SKIP_1) | instid1(VALU_DEP_1)
	v_fmac_f32_e32 v10, v11, v10
	v_div_scale_f32 v11, vcc_lo, s47, v8, s47
	v_mul_f32_e32 v12, v11, v10
	s_delay_alu instid0(VALU_DEP_1) | instskip(NEXT) | instid1(VALU_DEP_1)
	v_fma_f32 v13, v9, v12, v11
	v_fmac_f32_e32 v12, v13, v10
	s_delay_alu instid0(VALU_DEP_1) | instskip(NEXT) | instid1(VALU_DEP_1)
	v_fmac_f32_e32 v11, v9, v12
	v_div_fmas_f32 v9, v11, v10, v12
	s_delay_alu instid0(VALU_DEP_1) | instskip(NEXT) | instid1(VALU_DEP_1)
	v_div_fixup_f32 v8, v9, v8, s47
	v_cmp_ge_f32_e32 vcc_lo, s43, v8
	s_cbranch_vccnz .LBB31_76
; %bb.74:                               ;   in Loop: Header=BB31_11 Depth=1
	s_and_b32 s46, s46, exec_lo
	s_cselect_b32 s16, s16, s17
	s_mov_b32 s51, 0
	s_cmp_gt_f32 s16, 0
	s_cbranch_scc0 .LBB31_76
; %bb.75:                               ;   in Loop: Header=BB31_11 Depth=1
	s_mul_f32 s17, s47, s47
	s_delay_alu instid0(SALU_CYCLE_3) | instskip(SKIP_1) | instid1(VALU_DEP_2)
	v_div_scale_f32 v8, null, s16, s16, s17
	v_div_scale_f32 v11, vcc_lo, s17, s16, s17
	v_rcp_f32_e32 v9, v8
	v_nop
	v_xor_b32_e32 v8, 0x80000000, v8
	s_delay_alu instid0(TRANS32_DEP_1) | instid1(VALU_DEP_1)
	v_fma_f32 v10, v8, v9, 1.0
	s_delay_alu instid0(VALU_DEP_1) | instskip(NEXT) | instid1(VALU_DEP_1)
	v_fmac_f32_e32 v9, v10, v9
	v_mul_f32_e32 v10, v11, v9
	s_delay_alu instid0(VALU_DEP_1) | instskip(NEXT) | instid1(VALU_DEP_1)
	v_fma_f32 v12, v8, v10, v11
	v_fmac_f32_e32 v10, v12, v9
	s_delay_alu instid0(VALU_DEP_1) | instskip(NEXT) | instid1(VALU_DEP_1)
	v_fmac_f32_e32 v11, v8, v10
	v_div_fmas_f32 v8, v11, v9, v10
	s_delay_alu instid0(VALU_DEP_1) | instskip(NEXT) | instid1(VALU_DEP_1)
	v_div_fixup_f32 v8, v8, s16, s17
	v_div_scale_f32 v9, null, s16, s16, v8
	s_delay_alu instid0(VALU_DEP_1)
	v_rcp_f32_e32 v10, v9
	v_nop
	v_xor_b32_e32 v9, 0x80000000, v9
	s_delay_alu instid0(TRANS32_DEP_1) | instid1(VALU_DEP_1)
	v_fma_f32 v11, v9, v10, 1.0
	s_delay_alu instid0(VALU_DEP_1) | instskip(SKIP_1) | instid1(VALU_DEP_1)
	v_fmac_f32_e32 v10, v11, v10
	v_div_scale_f32 v11, vcc_lo, v8, s16, v8
	v_mul_f32_e32 v12, v11, v10
	s_delay_alu instid0(VALU_DEP_1) | instskip(NEXT) | instid1(VALU_DEP_1)
	v_fma_f32 v13, v9, v12, v11
	v_fmac_f32_e32 v12, v13, v10
	s_delay_alu instid0(VALU_DEP_1) | instskip(NEXT) | instid1(VALU_DEP_1)
	v_fmac_f32_e32 v11, v9, v12
	v_div_fmas_f32 v9, v11, v10, v12
	s_delay_alu instid0(VALU_DEP_1) | instskip(NEXT) | instid1(VALU_DEP_1)
	v_div_fixup_f32 v8, v9, s16, v8
	v_cmp_gt_f32_e64 s51, s41, v8
.LBB31_76:                              ;   in Loop: Header=BB31_11 Depth=1
	s_delay_alu instid0(VALU_DEP_1)
	s_and_b32 vcc_lo, exec_lo, s51
	s_cbranch_vccz .LBB31_78
; %bb.77:                               ;   in Loop: Header=BB31_11 Depth=1
	ds_store_b32 v3, v3 offset:1032
.LBB31_78:                              ;   in Loop: Header=BB31_11 Depth=1
	ds_store_b8 v3, v21 offset:1036
.LBB31_79:                              ;   in Loop: Header=BB31_11 Depth=1
	s_wait_xcnt 0x0
	s_or_b32 exec_lo, exec_lo, s7
	s_wait_storecnt_dscnt 0x0
	s_barrier_signal -1
	s_barrier_wait -1
	ds_load_u8 v8, v3 offset:1036
	s_mov_b32 s7, -1
	s_wait_dscnt 0x0
	v_cmp_eq_u32_e32 vcc_lo, 0, v8
	s_cbranch_vccz .LBB31_83
; %bb.80:                               ;   in Loop: Header=BB31_11 Depth=1
	s_and_saveexec_b32 s7, s5
	s_cbranch_execz .LBB31_82
; %bb.81:                               ;   in Loop: Header=BB31_11 Depth=1
	global_store_b32 v3, v3, s[60:61]
.LBB31_82:                              ;   in Loop: Header=BB31_11 Depth=1
	s_wait_xcnt 0x0
	s_or_b32 exec_lo, exec_lo, s7
	s_mov_b32 s7, 0
.LBB31_83:                              ;   in Loop: Header=BB31_11 Depth=1
	s_delay_alu instid0(SALU_CYCLE_1)
	s_and_not1_b32 vcc_lo, exec_lo, s7
	s_cbranch_vccnz .LBB31_10
; %bb.84:                               ;   in Loop: Header=BB31_11 Depth=1
	ds_load_b32 v8, v3 offset:1028
	s_wait_dscnt 0x0
	v_readfirstlane_b32 s58, v8
	s_and_saveexec_b32 s7, s5
	s_cbranch_execz .LBB31_86
; %bb.85:                               ;   in Loop: Header=BB31_11 Depth=1
	s_cmp_eq_u32 s58, 0
	s_cselect_b32 s16, -1, 1
	s_delay_alu instid0(SALU_CYCLE_1)
	v_mov_b32_e32 v8, s16
	global_store_b32 v3, v8, s[60:61]
.LBB31_86:                              ;   in Loop: Header=BB31_11 Depth=1
	s_wait_xcnt 0x0
	s_or_b32 exec_lo, exec_lo, s7
	s_add_co_i32 s68, s50, 1
	s_mul_i32 s60, s54, s33
	s_sub_co_i32 s66, 1, s58
	s_ashr_i32 s61, s60, 31
	s_sub_co_i32 s51, s58, s66
	s_lshl_b32 s7, s68, 1
	s_and_b32 s16, s20, exec_lo
	s_cselect_b32 s62, s7, 0
	s_and_saveexec_b32 s53, s5
	s_cbranch_execz .LBB31_149
; %bb.87:                               ;   in Loop: Header=BB31_11 Depth=1
	s_cmp_lg_u32 s58, 0
	v_mov_b32_e32 v12, 0
	s_cselect_b32 s46, -1, 0
	s_delay_alu instid0(SALU_CYCLE_1) | instskip(SKIP_1) | instid1(SALU_CYCLE_1)
	s_and_b32 s7, s46, exec_lo
	s_cselect_b32 s70, 0, s50
	v_mov_b32_e32 v8, s70
	global_load_b32 v10, v8, s[72:73] scale_offset
	s_wait_xcnt 0x0
	v_mov_b32_e32 v8, 0
	s_wait_loadcnt 0x0
	v_cmp_eq_f32_e32 vcc_lo, 0, v10
	s_cbranch_vccnz .LBB31_89
; %bb.88:                               ;   in Loop: Header=BB31_11 Depth=1
	ds_load_b32 v9, v3 offset:1032
	v_cmp_lt_f32_e64 s7, 0, v10
	s_wait_dscnt 0x0
	v_div_scale_f32 v11, null, v10, v10, v9
	v_div_scale_f32 v14, vcc_lo, v9, v10, v9
	s_delay_alu instid0(VALU_DEP_2)
	v_rcp_f32_e32 v12, v11
	v_nop
	v_xor_b32_e32 v11, 0x80000000, v11
	s_delay_alu instid0(TRANS32_DEP_1) | instid1(VALU_DEP_1)
	v_fma_f32 v13, v11, v12, 1.0
	s_delay_alu instid0(VALU_DEP_1) | instskip(NEXT) | instid1(VALU_DEP_1)
	v_fmac_f32_e32 v12, v13, v12
	v_mul_f32_e32 v13, v14, v12
	s_delay_alu instid0(VALU_DEP_1) | instskip(NEXT) | instid1(VALU_DEP_1)
	v_fma_f32 v15, v11, v13, v14
	v_fmac_f32_e32 v13, v15, v12
	v_cndmask_b32_e64 v15, 0, 1, s7
	v_cmp_gt_f32_e64 s7, 0, v10
	s_delay_alu instid0(VALU_DEP_3) | instskip(NEXT) | instid1(VALU_DEP_2)
	v_fmac_f32_e32 v14, v11, v13
	v_subrev_co_ci_u32_e64 v11, null, 0, v15, s7
	s_delay_alu instid0(VALU_DEP_2) | instskip(SKIP_1) | instid1(VALU_DEP_3)
	v_div_fmas_f32 v12, v14, v12, v13
	v_and_b32_e32 v13, 0x7fffffff, v10
	v_cvt_f32_i32_e32 v11, v11
	s_delay_alu instid0(VALU_DEP_3) | instskip(NEXT) | instid1(VALU_DEP_1)
	v_div_fixup_f32 v12, v12, v10, v9
	v_dual_sub_f32 v9, v13, v9 :: v_dual_add_f32 v11, v12, v11
	s_delay_alu instid0(VALU_DEP_1)
	v_mul_f32_e32 v12, v9, v11
.LBB31_89:                              ;   in Loop: Header=BB31_11 Depth=1
	s_ashr_i32 s71, s70, 31
	s_ashr_i32 s59, s58, 31
	s_delay_alu instid0(SALU_CYCLE_1) | instskip(NEXT) | instid1(SALU_CYCLE_1)
	s_add_nc_u64 s[74:75], s[70:71], s[58:59]
	s_lshl_b64 s[82:83], s[74:75], 2
	s_delay_alu instid0(SALU_CYCLE_1)
	s_add_nc_u64 s[76:77], s[64:65], s[82:83]
	global_load_b32 v11, v3, s[76:77] offset:-4
	s_wait_loadcnt 0x0
	v_cmp_eq_f32_e32 vcc_lo, 0, v11
	s_cbranch_vccnz .LBB31_93
; %bb.90:                               ;   in Loop: Header=BB31_11 Depth=1
	v_cmp_eq_f32_e32 vcc_lo, 0, v12
	s_cbranch_vccnz .LBB31_94
; %bb.91:                               ;   in Loop: Header=BB31_11 Depth=1
	v_and_b32_e32 v8, 0x7fffffff, v11
	v_and_b32_e32 v9, 0x7fffffff, v12
	s_delay_alu instid0(VALU_DEP_1)
	v_cmp_gt_f32_e32 vcc_lo, v8, v9
	s_cbranch_vccnz .LBB31_95
; %bb.92:                               ;   in Loop: Header=BB31_11 Depth=1
	v_div_scale_f32 v8, null, v12, v12, -v11
	v_div_scale_f32 v14, vcc_lo, -v11, v12, -v11
	s_delay_alu instid0(VALU_DEP_2)
	v_rcp_f32_e32 v9, v8
	v_nop
	v_xor_b32_e32 v8, 0x80000000, v8
	s_delay_alu instid0(TRANS32_DEP_1) | instid1(VALU_DEP_1)
	v_fma_f32 v13, v8, v9, 1.0
	s_delay_alu instid0(VALU_DEP_1) | instskip(NEXT) | instid1(VALU_DEP_1)
	v_fmac_f32_e32 v9, v13, v9
	v_mul_f32_e32 v13, v14, v9
	s_delay_alu instid0(VALU_DEP_1) | instskip(NEXT) | instid1(VALU_DEP_1)
	v_fma_f32 v15, v8, v13, v14
	v_fmac_f32_e32 v13, v15, v9
	s_delay_alu instid0(VALU_DEP_1) | instskip(NEXT) | instid1(VALU_DEP_1)
	v_fmac_f32_e32 v14, v8, v13
	v_div_fmas_f32 v8, v14, v9, v13
	s_delay_alu instid0(VALU_DEP_1) | instskip(NEXT) | instid1(VALU_DEP_1)
	v_div_fixup_f32 v8, v8, v12, -v11
	v_readfirstlane_b32 s7, v8
	s_fmaak_f32 s7, s7, s7, 0x3f800000
	s_delay_alu instid0(SALU_CYCLE_3) | instskip(SKIP_1) | instid1(SALU_CYCLE_2)
	s_mul_f32 s16, s7, 0x4f800000
	s_cmp_lt_f32 s7, 0xf800000
	s_cselect_b32 s16, s16, s7
	s_delay_alu instid0(SALU_CYCLE_1) | instskip(SKIP_1) | instid1(TRANS32_DEP_1)
	v_s_sqrt_f32 s17, s16
	s_mov_b32 s63, s16
	s_add_co_i32 s47, s17, -1
	s_delay_alu instid0(SALU_CYCLE_1) | instskip(NEXT) | instid1(SALU_CYCLE_1)
	s_xor_b32 s67, s47, 0x80000000
	s_fmac_f32 s63, s67, s17
	s_mov_b32 s67, s16
	s_delay_alu instid0(SALU_CYCLE_2) | instskip(SKIP_2) | instid1(SALU_CYCLE_1)
	s_cmp_le_f32 s63, 0
	s_cselect_b32 s47, s47, s17
	s_add_co_i32 s63, s17, 1
	s_xor_b32 s69, s63, 0x80000000
	s_delay_alu instid0(SALU_CYCLE_1) | instskip(SKIP_1) | instid1(SALU_CYCLE_2)
	s_fmac_f32 s67, s69, s17
	v_cmp_class_f32_e64 s17, s16, 0x260
	s_cmp_gt_f32 s67, 0
	s_cselect_b32 s47, s63, s47
	s_cmp_lt_f32 s7, 0xf800000
	s_mul_f32 s7, s47, 0x37800000
	s_delay_alu instid0(SALU_CYCLE_3) | instskip(SKIP_2) | instid1(SALU_CYCLE_1)
	s_cselect_b32 s7, s7, s47
	s_and_b32 s17, s17, exec_lo
	s_cselect_b32 s7, s16, s7
	v_div_scale_f32 v9, null, s7, s7, 1.0
	s_delay_alu instid0(VALU_DEP_1)
	v_rcp_f32_e32 v13, v9
	v_nop
	v_xor_b32_e32 v9, 0x80000000, v9
	s_delay_alu instid0(TRANS32_DEP_1) | instid1(VALU_DEP_1)
	v_fma_f32 v14, v9, v13, 1.0
	s_delay_alu instid0(VALU_DEP_1) | instskip(SKIP_1) | instid1(VALU_DEP_1)
	v_fmac_f32_e32 v13, v14, v13
	v_div_scale_f32 v14, vcc_lo, 1.0, s7, 1.0
	v_mul_f32_e32 v15, v14, v13
	s_delay_alu instid0(VALU_DEP_1) | instskip(NEXT) | instid1(VALU_DEP_1)
	v_fma_f32 v16, v9, v15, v14
	v_fmac_f32_e32 v15, v16, v13
	s_delay_alu instid0(VALU_DEP_1) | instskip(NEXT) | instid1(VALU_DEP_1)
	v_fmac_f32_e32 v14, v9, v15
	v_div_fmas_f32 v9, v14, v13, v15
	s_delay_alu instid0(VALU_DEP_1) | instskip(NEXT) | instid1(VALU_DEP_1)
	v_div_fixup_f32 v9, v9, s7, 1.0
	v_mul_f32_e32 v8, v8, v9
	s_cbranch_execz .LBB31_96
	s_branch .LBB31_97
.LBB31_93:                              ;   in Loop: Header=BB31_11 Depth=1
	v_mov_b32_e32 v9, 1.0
	s_branch .LBB31_97
.LBB31_94:                              ;   in Loop: Header=BB31_11 Depth=1
	v_dual_mov_b32 v8, 1.0 :: v_dual_mov_b32 v9, 0
	s_branch .LBB31_97
.LBB31_95:                              ;   in Loop: Header=BB31_11 Depth=1
                                        ; implicit-def: $vgpr9
.LBB31_96:                              ;   in Loop: Header=BB31_11 Depth=1
	v_div_scale_f32 v8, null, v11, v11, -v12
	v_div_scale_f32 v14, vcc_lo, -v12, v11, -v12
	s_delay_alu instid0(VALU_DEP_2)
	v_rcp_f32_e32 v9, v8
	v_nop
	v_xor_b32_e32 v8, 0x80000000, v8
	s_delay_alu instid0(TRANS32_DEP_1) | instid1(VALU_DEP_1)
	v_fma_f32 v13, v8, v9, 1.0
	s_delay_alu instid0(VALU_DEP_1) | instskip(NEXT) | instid1(VALU_DEP_1)
	v_fmac_f32_e32 v9, v13, v9
	v_mul_f32_e32 v13, v14, v9
	s_delay_alu instid0(VALU_DEP_1) | instskip(NEXT) | instid1(VALU_DEP_1)
	v_fma_f32 v15, v8, v13, v14
	v_fmac_f32_e32 v13, v15, v9
	s_delay_alu instid0(VALU_DEP_1) | instskip(NEXT) | instid1(VALU_DEP_1)
	v_fmac_f32_e32 v14, v8, v13
	v_div_fmas_f32 v8, v14, v9, v13
	s_delay_alu instid0(VALU_DEP_1) | instskip(NEXT) | instid1(VALU_DEP_1)
	v_div_fixup_f32 v9, v8, v11, -v12
	v_readfirstlane_b32 s7, v9
	s_fmaak_f32 s7, s7, s7, 0x3f800000
	s_delay_alu instid0(SALU_CYCLE_3) | instskip(SKIP_1) | instid1(SALU_CYCLE_2)
	s_mul_f32 s16, s7, 0x4f800000
	s_cmp_lt_f32 s7, 0xf800000
	s_cselect_b32 s16, s16, s7
	s_delay_alu instid0(SALU_CYCLE_1) | instskip(SKIP_1) | instid1(TRANS32_DEP_1)
	v_s_sqrt_f32 s17, s16
	s_mov_b32 s63, s16
	s_add_co_i32 s47, s17, -1
	s_delay_alu instid0(SALU_CYCLE_1) | instskip(NEXT) | instid1(SALU_CYCLE_1)
	s_xor_b32 s67, s47, 0x80000000
	s_fmac_f32 s63, s67, s17
	s_mov_b32 s67, s16
	s_delay_alu instid0(SALU_CYCLE_2) | instskip(SKIP_2) | instid1(SALU_CYCLE_1)
	s_cmp_le_f32 s63, 0
	s_cselect_b32 s47, s47, s17
	s_add_co_i32 s63, s17, 1
	s_xor_b32 s69, s63, 0x80000000
	s_delay_alu instid0(SALU_CYCLE_1) | instskip(SKIP_1) | instid1(SALU_CYCLE_2)
	s_fmac_f32 s67, s69, s17
	v_cmp_class_f32_e64 s17, s16, 0x260
	s_cmp_gt_f32 s67, 0
	s_cselect_b32 s47, s63, s47
	s_cmp_lt_f32 s7, 0xf800000
	s_mul_f32 s7, s47, 0x37800000
	s_delay_alu instid0(SALU_CYCLE_3) | instskip(SKIP_2) | instid1(SALU_CYCLE_1)
	s_cselect_b32 s7, s7, s47
	s_and_b32 s17, s17, exec_lo
	s_cselect_b32 s7, s16, s7
	v_div_scale_f32 v8, null, s7, s7, 1.0
	s_delay_alu instid0(VALU_DEP_1)
	v_rcp_f32_e32 v12, v8
	v_nop
	v_xor_b32_e32 v8, 0x80000000, v8
	s_delay_alu instid0(TRANS32_DEP_1) | instid1(VALU_DEP_1)
	v_fma_f32 v13, v8, v12, 1.0
	s_delay_alu instid0(VALU_DEP_1) | instskip(SKIP_1) | instid1(VALU_DEP_1)
	v_fmac_f32_e32 v12, v13, v12
	v_div_scale_f32 v13, vcc_lo, 1.0, s7, 1.0
	v_mul_f32_e32 v14, v13, v12
	s_delay_alu instid0(VALU_DEP_1) | instskip(NEXT) | instid1(VALU_DEP_1)
	v_fma_f32 v15, v8, v14, v13
	v_fmac_f32_e32 v14, v15, v12
	s_delay_alu instid0(VALU_DEP_1) | instskip(NEXT) | instid1(VALU_DEP_1)
	v_fmac_f32_e32 v13, v8, v14
	v_div_fmas_f32 v8, v13, v12, v14
	s_delay_alu instid0(VALU_DEP_1) | instskip(NEXT) | instid1(VALU_DEP_1)
	v_div_fixup_f32 v8, v8, s7, 1.0
	v_mul_f32_e32 v9, v9, v8
.LBB31_97:                              ;   in Loop: Header=BB31_11 Depth=1
	s_delay_alu instid0(VALU_DEP_1)
	v_pk_mul_f32 v[12:13], v[10:11], v[8:9]
	s_sub_nc_u64 s[78:79], 0, s[58:59]
	s_lshl_b64 s[16:17], s[70:71], 2
	s_sub_nc_u64 s[80:81], s[58:59], s[78:79]
	s_add_nc_u64 s[86:87], s[72:73], s[16:17]
	v_add_f32_e32 v12, v12, v13
	s_lshl_b64 s[16:17], s[80:81], 2
	s_and_b32 s7, s20, s46
	s_add_nc_u64 s[84:85], s[86:87], s[16:17]
	s_lshl_b64 s[78:79], s[60:61], 2
	s_clause 0x1
	global_store_b32 v3, v12, s[76:77] offset:-4
	global_load_b32 v12, v3, s[84:85] offset:-4
	v_cndmask_b32_e64 v14, 0, 1, s7
	s_add_nc_u64 s[72:73], s[26:27], s[78:79]
	s_and_not1_b32 vcc_lo, exec_lo, s7
	s_add_nc_u64 s[82:83], s[72:73], s[82:83]
	s_wait_loadcnt 0x0
	v_mul_f32_e32 v13, v9, v12
	global_store_b32 v3, v13, s[84:85] offset:-4
	s_cbranch_vccnz .LBB31_99
; %bb.98:                               ;   in Loop: Header=BB31_11 Depth=1
	s_wait_xcnt 0x0
	v_mov_b32_e32 v13, s68
	s_clause 0x1
	global_store_b32 v3, v9, s[82:83] offset:12
	global_store_b32 v13, v8, s[82:83] offset:12 scale_offset
.LBB31_99:                              ;   in Loop: Header=BB31_11 Depth=1
	s_cmp_lg_u32 s58, 1
	s_cselect_b32 s7, -1, 0
	s_cmp_eq_u32 s58, 1
	s_cselect_b32 s16, -1, 0
	s_delay_alu instid0(SALU_CYCLE_1) | instskip(NEXT) | instid1(SALU_CYCLE_1)
	s_or_b32 s16, s102, s16
	s_and_b32 vcc_lo, exec_lo, s16
	s_cbranch_vccnz .LBB31_101
; %bb.100:                              ;   in Loop: Header=BB31_11 Depth=1
	s_ashr_i32 s63, s62, 31
	s_wait_xcnt 0x0
	v_mov_b32_e32 v13, s68
	s_add_nc_u64 s[88:89], s[74:75], s[62:63]
	s_delay_alu instid0(SALU_CYCLE_1) | instskip(NEXT) | instid1(SALU_CYCLE_1)
	s_lshl_b64 s[88:89], s[88:89], 2
	s_add_nc_u64 s[88:89], s[72:73], s[88:89]
	s_clause 0x1
	global_store_b32 v3, v9, s[88:89] offset:12
	global_store_b32 v13, v8, s[88:89] offset:12 scale_offset
.LBB31_101:                             ;   in Loop: Header=BB31_11 Depth=1
	s_wait_xcnt 0x0
	v_xor_b32_e32 v13, 0x80000000, v8
	s_delay_alu instid0(VALU_DEP_1) | instskip(NEXT) | instid1(VALU_DEP_1)
	v_dual_mul_f32 v11, v11, v8 :: v_dual_mul_f32 v8, v12, v13
	v_xor_b32_e32 v12, 0x80000000, v11
	s_delay_alu instid0(VALU_DEP_2) | instskip(NEXT) | instid1(VALU_DEP_2)
	v_cmp_eq_f32_e32 vcc_lo, 0, v8
	v_fmac_f32_e32 v12, v10, v9
	s_cbranch_vccnz .LBB31_105
; %bb.102:                              ;   in Loop: Header=BB31_11 Depth=1
	s_delay_alu instid0(VALU_DEP_1)
	v_cmp_eq_f32_e32 vcc_lo, 0, v12
	s_cbranch_vccnz .LBB31_106
; %bb.103:                              ;   in Loop: Header=BB31_11 Depth=1
	v_and_b32_e32 v9, 0x7fffffff, v8
	v_and_b32_e32 v10, 0x7fffffff, v12
	s_delay_alu instid0(VALU_DEP_1)
	v_cmp_gt_f32_e32 vcc_lo, v9, v10
	s_cbranch_vccnz .LBB31_107
; %bb.104:                              ;   in Loop: Header=BB31_11 Depth=1
	v_div_scale_f32 v9, null, v12, v12, -v8
	v_div_scale_f32 v13, vcc_lo, -v8, v12, -v8
	s_delay_alu instid0(VALU_DEP_2)
	v_rcp_f32_e32 v10, v9
	v_nop
	v_xor_b32_e32 v9, 0x80000000, v9
	s_delay_alu instid0(TRANS32_DEP_1) | instid1(VALU_DEP_1)
	v_fma_f32 v11, v9, v10, 1.0
	s_delay_alu instid0(VALU_DEP_1) | instskip(NEXT) | instid1(VALU_DEP_1)
	v_fmac_f32_e32 v10, v11, v10
	v_mul_f32_e32 v11, v13, v10
	s_delay_alu instid0(VALU_DEP_1) | instskip(NEXT) | instid1(VALU_DEP_1)
	v_fma_f32 v15, v9, v11, v13
	v_fmac_f32_e32 v11, v15, v10
	s_delay_alu instid0(VALU_DEP_1) | instskip(NEXT) | instid1(VALU_DEP_1)
	v_fmac_f32_e32 v13, v9, v11
	v_div_fmas_f32 v9, v13, v10, v11
	s_delay_alu instid0(VALU_DEP_1) | instskip(NEXT) | instid1(VALU_DEP_1)
	v_div_fixup_f32 v9, v9, v12, -v8
	v_readfirstlane_b32 s17, v9
	s_fmaak_f32 s17, s17, s17, 0x3f800000
	s_delay_alu instid0(SALU_CYCLE_3) | instskip(SKIP_1) | instid1(SALU_CYCLE_2)
	s_mul_f32 s47, s17, 0x4f800000
	s_cmp_lt_f32 s17, 0xf800000
	s_cselect_b32 s47, s47, s17
	s_delay_alu instid0(SALU_CYCLE_1) | instskip(SKIP_1) | instid1(TRANS32_DEP_1)
	v_s_sqrt_f32 s63, s47
	s_mov_b32 s69, s47
	s_add_co_i32 s67, s63, -1
	s_delay_alu instid0(SALU_CYCLE_1) | instskip(NEXT) | instid1(SALU_CYCLE_1)
	s_xor_b32 s71, s67, 0x80000000
	s_fmac_f32 s69, s71, s63
	s_mov_b32 s71, s47
	s_delay_alu instid0(SALU_CYCLE_2) | instskip(SKIP_2) | instid1(SALU_CYCLE_1)
	s_cmp_le_f32 s69, 0
	s_cselect_b32 s67, s67, s63
	s_add_co_i32 s69, s63, 1
	s_xor_b32 s88, s69, 0x80000000
	s_delay_alu instid0(SALU_CYCLE_1) | instskip(SKIP_1) | instid1(SALU_CYCLE_2)
	s_fmac_f32 s71, s88, s63
	v_cmp_class_f32_e64 s63, s47, 0x260
	s_cmp_gt_f32 s71, 0
	s_cselect_b32 s67, s69, s67
	s_cmp_lt_f32 s17, 0xf800000
	s_mul_f32 s17, s67, 0x37800000
	s_delay_alu instid0(SALU_CYCLE_3) | instskip(SKIP_2) | instid1(SALU_CYCLE_1)
	s_cselect_b32 s17, s17, s67
	s_and_b32 s63, s63, exec_lo
	s_cselect_b32 s17, s47, s17
	v_div_scale_f32 v10, null, s17, s17, 1.0
	s_delay_alu instid0(VALU_DEP_1)
	v_rcp_f32_e32 v11, v10
	v_nop
	v_xor_b32_e32 v10, 0x80000000, v10
	s_delay_alu instid0(TRANS32_DEP_1) | instid1(VALU_DEP_1)
	v_fma_f32 v13, v10, v11, 1.0
	s_delay_alu instid0(VALU_DEP_1) | instskip(SKIP_1) | instid1(VALU_DEP_1)
	v_fmac_f32_e32 v11, v13, v11
	v_div_scale_f32 v13, vcc_lo, 1.0, s17, 1.0
	v_mul_f32_e32 v15, v13, v11
	s_delay_alu instid0(VALU_DEP_1) | instskip(NEXT) | instid1(VALU_DEP_1)
	v_fma_f32 v16, v10, v15, v13
	v_fmac_f32_e32 v15, v16, v11
	s_delay_alu instid0(VALU_DEP_1) | instskip(NEXT) | instid1(VALU_DEP_1)
	v_fmac_f32_e32 v13, v10, v15
	v_div_fmas_f32 v10, v13, v11, v15
	s_delay_alu instid0(VALU_DEP_1) | instskip(NEXT) | instid1(VALU_DEP_1)
	v_div_fixup_f32 v10, v10, s17, 1.0
	v_mul_f32_e32 v11, v9, v10
	s_cbranch_execz .LBB31_108
	s_branch .LBB31_109
.LBB31_105:                             ;   in Loop: Header=BB31_11 Depth=1
	v_dual_mov_b32 v11, 0 :: v_dual_mov_b32 v10, 1.0
	s_branch .LBB31_111
.LBB31_106:                             ;   in Loop: Header=BB31_11 Depth=1
	v_xor_b32_e32 v12, 0x80000000, v8
                                        ; implicit-def: $vgpr10
	s_cbranch_execnz .LBB31_110
	s_branch .LBB31_111
.LBB31_107:                             ;   in Loop: Header=BB31_11 Depth=1
                                        ; implicit-def: $vgpr11
.LBB31_108:                             ;   in Loop: Header=BB31_11 Depth=1
	v_div_scale_f32 v9, null, v8, v8, -v12
	v_div_scale_f32 v13, vcc_lo, -v12, v8, -v12
	s_delay_alu instid0(VALU_DEP_2)
	v_rcp_f32_e32 v10, v9
	v_nop
	v_xor_b32_e32 v9, 0x80000000, v9
	s_delay_alu instid0(TRANS32_DEP_1) | instid1(VALU_DEP_1)
	v_fma_f32 v11, v9, v10, 1.0
	s_delay_alu instid0(VALU_DEP_1) | instskip(NEXT) | instid1(VALU_DEP_1)
	v_fmac_f32_e32 v10, v11, v10
	v_mul_f32_e32 v11, v13, v10
	s_delay_alu instid0(VALU_DEP_1) | instskip(NEXT) | instid1(VALU_DEP_1)
	v_fma_f32 v15, v9, v11, v13
	v_fmac_f32_e32 v11, v15, v10
	s_delay_alu instid0(VALU_DEP_1) | instskip(NEXT) | instid1(VALU_DEP_1)
	v_fmac_f32_e32 v13, v9, v11
	v_div_fmas_f32 v9, v13, v10, v11
	s_delay_alu instid0(VALU_DEP_1) | instskip(NEXT) | instid1(VALU_DEP_1)
	v_div_fixup_f32 v9, v9, v8, -v12
	v_readfirstlane_b32 s17, v9
	s_fmaak_f32 s17, s17, s17, 0x3f800000
	s_delay_alu instid0(SALU_CYCLE_3) | instskip(SKIP_1) | instid1(SALU_CYCLE_2)
	s_mul_f32 s47, s17, 0x4f800000
	s_cmp_lt_f32 s17, 0xf800000
	s_cselect_b32 s47, s47, s17
	s_delay_alu instid0(SALU_CYCLE_1) | instskip(SKIP_1) | instid1(TRANS32_DEP_1)
	v_s_sqrt_f32 s63, s47
	s_mov_b32 s69, s47
	s_add_co_i32 s67, s63, -1
	s_delay_alu instid0(SALU_CYCLE_1) | instskip(NEXT) | instid1(SALU_CYCLE_1)
	s_xor_b32 s71, s67, 0x80000000
	s_fmac_f32 s69, s71, s63
	s_mov_b32 s71, s47
	s_delay_alu instid0(SALU_CYCLE_2) | instskip(SKIP_2) | instid1(SALU_CYCLE_1)
	s_cmp_le_f32 s69, 0
	s_cselect_b32 s67, s67, s63
	s_add_co_i32 s69, s63, 1
	s_xor_b32 s88, s69, 0x80000000
	s_delay_alu instid0(SALU_CYCLE_1) | instskip(SKIP_1) | instid1(SALU_CYCLE_2)
	s_fmac_f32 s71, s88, s63
	v_cmp_class_f32_e64 s63, s47, 0x260
	s_cmp_gt_f32 s71, 0
	s_cselect_b32 s67, s69, s67
	s_cmp_lt_f32 s17, 0xf800000
	s_mul_f32 s17, s67, 0x37800000
	s_delay_alu instid0(SALU_CYCLE_3) | instskip(SKIP_2) | instid1(SALU_CYCLE_1)
	s_cselect_b32 s17, s17, s67
	s_and_b32 s63, s63, exec_lo
	s_cselect_b32 s17, s47, s17
	v_div_scale_f32 v10, null, s17, s17, 1.0
	s_delay_alu instid0(VALU_DEP_1)
	v_rcp_f32_e32 v11, v10
	v_nop
	v_xor_b32_e32 v10, 0x80000000, v10
	s_delay_alu instid0(TRANS32_DEP_1) | instid1(VALU_DEP_1)
	v_fma_f32 v13, v10, v11, 1.0
	s_delay_alu instid0(VALU_DEP_1) | instskip(SKIP_1) | instid1(VALU_DEP_1)
	v_fmac_f32_e32 v11, v13, v11
	v_div_scale_f32 v13, vcc_lo, 1.0, s17, 1.0
	v_mul_f32_e32 v15, v13, v11
	s_delay_alu instid0(VALU_DEP_1) | instskip(NEXT) | instid1(VALU_DEP_1)
	v_fma_f32 v16, v10, v15, v13
	v_fmac_f32_e32 v15, v16, v11
	s_delay_alu instid0(VALU_DEP_1) | instskip(NEXT) | instid1(VALU_DEP_1)
	v_fmac_f32_e32 v13, v10, v15
	v_div_fmas_f32 v10, v13, v11, v15
	s_delay_alu instid0(VALU_DEP_1) | instskip(NEXT) | instid1(VALU_DEP_1)
	v_div_fixup_f32 v11, v10, s17, 1.0
	v_mul_f32_e32 v10, v9, v11
.LBB31_109:                             ;   in Loop: Header=BB31_11 Depth=1
	v_mov_b32_e32 v13, v8
	s_delay_alu instid0(VALU_DEP_1) | instskip(NEXT) | instid1(VALU_DEP_1)
	v_pk_mul_f32 v[12:13], v[12:13], v[10:11]
	v_sub_f32_e32 v12, v12, v13
	s_branch .LBB31_111
.LBB31_110:                             ;   in Loop: Header=BB31_11 Depth=1
	v_dual_mov_b32 v11, 1.0 :: v_dual_mov_b32 v10, 0
.LBB31_111:                             ;   in Loop: Header=BB31_11 Depth=1
	s_clause 0x2
	global_store_b32 v3, v12, s[86:87]
	global_load_b32 v9, v3, s[84:85] offset:-4
	global_load_b32 v12, v3, s[76:77] offset:-4
	s_cmp_eq_u32 s68, 2
	s_wait_loadcnt 0x1
	v_mul_f32_e32 v13, v10, v9
	s_wait_loadcnt 0x0
	s_delay_alu instid0(VALU_DEP_1)
	v_fmac_f32_e32 v13, v11, v12
	global_store_b32 v3, v13, s[84:85] offset:-4
	s_cbranch_scc0 .LBB31_169
; %bb.112:                              ;   in Loop: Header=BB31_11 Depth=1
	s_and_b32 s7, s20, s7
	s_delay_alu instid0(SALU_CYCLE_1)
	v_cndmask_b32_e64 v15, 0, 1, s7
	s_and_not1_b32 vcc_lo, exec_lo, s7
	s_cbranch_vccz .LBB31_170
.LBB31_113:                             ;   in Loop: Header=BB31_11 Depth=1
	s_xor_b32 s7, s46, -1
	s_delay_alu instid0(SALU_CYCLE_1) | instskip(NEXT) | instid1(SALU_CYCLE_1)
	s_or_b32 s17, s102, s7
	s_and_b32 vcc_lo, exec_lo, s17
	s_cbranch_vccnz .LBB31_115
.LBB31_114:                             ;   in Loop: Header=BB31_11 Depth=1
	s_ashr_i32 s63, s62, 31
	s_wait_xcnt 0x0
	v_mov_b32_e32 v13, s68
	s_add_nc_u64 s[74:75], s[74:75], s[62:63]
	s_delay_alu instid0(SALU_CYCLE_1) | instskip(NEXT) | instid1(SALU_CYCLE_1)
	s_lshl_b64 s[74:75], s[74:75], 2
	s_add_nc_u64 s[72:73], s[72:73], s[74:75]
	s_clause 0x1
	global_store_b32 v3, v10, s[72:73] offset:12
	global_store_b32 v13, v11, s[72:73] offset:12 scale_offset
.LBB31_115:                             ;   in Loop: Header=BB31_11 Depth=1
	v_mul_f32_e32 v9, v11, v9
	s_cmp_eq_u32 s50, 1
	s_mov_b32 s7, 0
	s_delay_alu instid0(VALU_DEP_1) | instskip(NEXT) | instid1(VALU_DEP_1)
	v_xor_b32_e32 v9, 0x80000000, v9
	v_fmac_f32_e32 v9, v10, v12
	s_cbranch_scc1 .LBB31_148
; %bb.116:                              ;   in Loop: Header=BB31_11 Depth=1
	s_wait_xcnt 0x0
	s_add_co_i32 s72, s70, s51
	s_lshl_b64 s[76:77], s[58:59], 3
	s_ashr_i32 s73, s72, 31
	v_readlane_b32 s14, v32, 3
	v_readlane_b32 s15, v32, 4
	s_sub_co_i32 s82, s70, s66
	s_add_nc_u64 s[84:85], s[76:77], s[56:57]
	s_lshl_b64 s[74:75], s[72:73], 2
	s_ashr_i32 s63, s62, 31
	s_add_nc_u64 s[70:71], s[84:85], s[74:75]
	s_add_nc_u64 s[80:81], s[80:81], s[62:63]
	s_ashr_i32 s83, s82, 31
	s_add_nc_u64 s[70:71], s[14:15], s[70:71]
	s_add_nc_u64 s[80:81], s[80:81], s[82:83]
	v_readlane_b32 s14, v32, 0
	v_readlane_b32 s15, v32, 1
	s_ashr_i32 s69, s68, 31
	s_lshl_b64 s[80:81], s[80:81], 2
	s_lshl_b64 s[86:87], s[68:69], 2
	s_add_nc_u64 s[80:81], s[80:81], s[78:79]
	s_add_nc_u64 s[68:69], s[56:57], s[74:75]
	;; [unrolled: 1-line block ×6, first 2 shown]
	s_lshl_b32 s67, s58, 1
	s_add_nc_u64 s[80:81], s[80:81], s[82:83]
	s_add_co_i32 s72, s67, -2
	s_lshl_b64 s[88:89], s[82:83], 2
	s_mul_u64 s[82:83], s[58:59], 12
	s_lshl_b64 s[80:81], s[80:81], 2
	s_ashr_i32 s67, s66, 31
	v_readlane_b32 s14, v32, 5
	v_readlane_b32 s15, v32, 6
	s_add_nc_u64 s[80:81], s[82:83], s[80:81]
	s_lshl_b64 s[82:83], s[66:67], 2
	s_ashr_i32 s73, s72, 31
	s_sub_nc_u64 s[80:81], s[80:81], s[82:83]
	s_add_nc_u64 s[78:79], s[78:79], s[88:89]
	s_add_nc_u64 s[80:81], s[14:15], s[80:81]
	v_readlane_b32 s14, v32, 7
	v_readlane_b32 s15, v32, 8
	s_lshl_b64 s[72:73], s[72:73], 2
	s_add_nc_u64 s[86:87], s[78:79], s[86:87]
	s_add_nc_u64 s[82:83], s[84:85], s[88:89]
	;; [unrolled: 1-line block ×3, first 2 shown]
	s_xor_b32 s47, s16, -1
	s_xor_b32 s16, s17, -1
	s_add_co_i32 s7, s50, -1
	s_mov_b32 s17, 1
	s_or_b64 s[72:73], s[72:73], 4
	s_add_nc_u64 s[68:69], s[12:13], s[68:69]
	s_add_nc_u64 s[74:75], s[44:45], s[74:75]
	;; [unrolled: 1-line block ×6, first 2 shown]
	s_mov_b64 s[86:87], 0
	s_branch .LBB31_118
.LBB31_117:                             ;   in Loop: Header=BB31_118 Depth=2
	v_mul_f32_e32 v9, v13, v9
	s_add_co_i32 s17, s17, 1
	s_add_nc_u64 s[86:87], s[86:87], s[72:73]
	s_cmp_eq_u32 s50, s17
	s_delay_alu instid0(VALU_DEP_1) | instskip(NEXT) | instid1(VALU_DEP_1)
	v_xor_b32_e32 v9, 0x80000000, v9
	v_fmac_f32_e32 v9, v12, v10
	s_cbranch_scc1 .LBB31_148
.LBB31_118:                             ;   Parent Loop BB31_11 Depth=1
                                        ; =>  This Inner Loop Header: Depth=2
	v_cmp_eq_f32_e32 vcc_lo, 0, v8
	s_cbranch_vccnz .LBB31_122
; %bb.119:                              ;   in Loop: Header=BB31_118 Depth=2
	s_delay_alu instid0(VALU_DEP_2)
	v_cmp_neq_f32_e32 vcc_lo, 0, v9
	s_cbranch_vccz .LBB31_123
; %bb.120:                              ;   in Loop: Header=BB31_118 Depth=2
	v_and_b32_e32 v10, 0x7fffffff, v8
	s_wait_xcnt 0x0
	v_and_b32_e32 v11, 0x7fffffff, v9
	s_delay_alu instid0(VALU_DEP_1)
	v_cmp_ngt_f32_e32 vcc_lo, v10, v11
	s_cbranch_vccz .LBB31_124
; %bb.121:                              ;   in Loop: Header=BB31_118 Depth=2
	v_div_scale_f32 v10, null, v9, v9, -v8
	v_div_scale_f32 v13, vcc_lo, -v8, v9, -v8
	s_delay_alu instid0(VALU_DEP_2)
	v_rcp_f32_e32 v11, v10
	v_nop
	v_xor_b32_e32 v10, 0x80000000, v10
	s_delay_alu instid0(TRANS32_DEP_1) | instid1(VALU_DEP_1)
	v_fma_f32 v12, v10, v11, 1.0
	s_delay_alu instid0(VALU_DEP_1) | instskip(NEXT) | instid1(VALU_DEP_1)
	v_fmac_f32_e32 v11, v12, v11
	v_mul_f32_e32 v12, v13, v11
	s_delay_alu instid0(VALU_DEP_1) | instskip(NEXT) | instid1(VALU_DEP_1)
	v_fma_f32 v16, v10, v12, v13
	v_fmac_f32_e32 v12, v16, v11
	s_delay_alu instid0(VALU_DEP_1) | instskip(NEXT) | instid1(VALU_DEP_1)
	v_fmac_f32_e32 v13, v10, v12
	v_div_fmas_f32 v10, v13, v11, v12
	s_delay_alu instid0(VALU_DEP_1) | instskip(NEXT) | instid1(VALU_DEP_1)
	v_div_fixup_f32 v10, v10, v9, -v8
	v_readfirstlane_b32 s59, v10
	s_fmaak_f32 s59, s59, s59, 0x3f800000
	s_delay_alu instid0(SALU_CYCLE_3) | instskip(SKIP_1) | instid1(SALU_CYCLE_2)
	s_mul_f32 s63, s59, 0x4f800000
	s_cmp_lt_f32 s59, 0xf800000
	s_cselect_b32 s63, s63, s59
	s_delay_alu instid0(SALU_CYCLE_1) | instskip(SKIP_1) | instid1(TRANS32_DEP_1)
	v_s_sqrt_f32 s88, s63
	s_mov_b32 s90, s63
	s_add_co_i32 s89, s88, -1
	s_delay_alu instid0(SALU_CYCLE_1) | instskip(NEXT) | instid1(SALU_CYCLE_1)
	s_xor_b32 s91, s89, 0x80000000
	s_fmac_f32 s90, s91, s88
	s_mov_b32 s91, s63
	s_delay_alu instid0(SALU_CYCLE_2) | instskip(SKIP_2) | instid1(SALU_CYCLE_1)
	s_cmp_le_f32 s90, 0
	s_cselect_b32 s89, s89, s88
	s_add_co_i32 s90, s88, 1
	s_xor_b32 s92, s90, 0x80000000
	s_delay_alu instid0(SALU_CYCLE_1) | instskip(SKIP_1) | instid1(SALU_CYCLE_2)
	s_fmac_f32 s91, s92, s88
	v_cmp_class_f32_e64 s88, s63, 0x260
	s_cmp_gt_f32 s91, 0
	s_cselect_b32 s89, s90, s89
	s_cmp_lt_f32 s59, 0xf800000
	s_mul_f32 s59, s89, 0x37800000
	s_delay_alu instid0(SALU_CYCLE_3) | instskip(SKIP_2) | instid1(SALU_CYCLE_1)
	s_cselect_b32 s59, s59, s89
	s_and_b32 s88, s88, exec_lo
	s_cselect_b32 s59, s63, s59
	v_div_scale_f32 v11, null, s59, s59, 1.0
	s_delay_alu instid0(VALU_DEP_1)
	v_rcp_f32_e32 v12, v11
	v_nop
	v_xor_b32_e32 v11, 0x80000000, v11
	s_delay_alu instid0(TRANS32_DEP_1) | instid1(VALU_DEP_1)
	v_fma_f32 v13, v11, v12, 1.0
	s_delay_alu instid0(VALU_DEP_1) | instskip(SKIP_1) | instid1(VALU_DEP_1)
	v_fmac_f32_e32 v12, v13, v12
	v_div_scale_f32 v13, vcc_lo, 1.0, s59, 1.0
	v_mul_f32_e32 v16, v13, v12
	s_delay_alu instid0(VALU_DEP_1) | instskip(NEXT) | instid1(VALU_DEP_1)
	v_fma_f32 v17, v11, v16, v13
	v_fmac_f32_e32 v16, v17, v12
	s_delay_alu instid0(VALU_DEP_1) | instskip(NEXT) | instid1(VALU_DEP_1)
	v_fmac_f32_e32 v13, v11, v16
	v_div_fmas_f32 v11, v13, v12, v16
	s_delay_alu instid0(VALU_DEP_1) | instskip(NEXT) | instid1(VALU_DEP_1)
	v_div_fixup_f32 v11, v11, s59, 1.0
	v_mul_f32_e32 v10, v10, v11
	s_cbranch_execz .LBB31_125
	s_branch .LBB31_126
.LBB31_122:                             ;   in Loop: Header=BB31_118 Depth=2
	s_wait_xcnt 0x0
	v_dual_mov_b32 v10, 0 :: v_dual_mov_b32 v11, 1.0
	s_branch .LBB31_128
.LBB31_123:                             ;   in Loop: Header=BB31_118 Depth=2
	v_xor_b32_e32 v9, 0x80000000, v8
                                        ; implicit-def: $vgpr11
	s_cbranch_execnz .LBB31_127
	s_branch .LBB31_128
.LBB31_124:                             ;   in Loop: Header=BB31_118 Depth=2
                                        ; implicit-def: $vgpr11
.LBB31_125:                             ;   in Loop: Header=BB31_118 Depth=2
	v_div_scale_f32 v10, null, v8, v8, -v9
	v_div_scale_f32 v13, vcc_lo, -v9, v8, -v9
	s_delay_alu instid0(VALU_DEP_2)
	v_rcp_f32_e32 v11, v10
	v_nop
	v_xor_b32_e32 v10, 0x80000000, v10
	s_delay_alu instid0(TRANS32_DEP_1) | instid1(VALU_DEP_1)
	v_fma_f32 v12, v10, v11, 1.0
	s_delay_alu instid0(VALU_DEP_1) | instskip(NEXT) | instid1(VALU_DEP_1)
	v_fmac_f32_e32 v11, v12, v11
	v_mul_f32_e32 v12, v13, v11
	s_delay_alu instid0(VALU_DEP_1) | instskip(NEXT) | instid1(VALU_DEP_1)
	v_fma_f32 v16, v10, v12, v13
	v_fmac_f32_e32 v12, v16, v11
	s_delay_alu instid0(VALU_DEP_1) | instskip(NEXT) | instid1(VALU_DEP_1)
	v_fmac_f32_e32 v13, v10, v12
	v_div_fmas_f32 v10, v13, v11, v12
	s_delay_alu instid0(VALU_DEP_1) | instskip(NEXT) | instid1(VALU_DEP_1)
	v_div_fixup_f32 v11, v10, v8, -v9
	v_readfirstlane_b32 s59, v11
	s_fmaak_f32 s59, s59, s59, 0x3f800000
	s_delay_alu instid0(SALU_CYCLE_3) | instskip(SKIP_1) | instid1(SALU_CYCLE_2)
	s_mul_f32 s63, s59, 0x4f800000
	s_cmp_lt_f32 s59, 0xf800000
	s_cselect_b32 s63, s63, s59
	s_delay_alu instid0(SALU_CYCLE_1) | instskip(SKIP_1) | instid1(TRANS32_DEP_1)
	v_s_sqrt_f32 s88, s63
	s_mov_b32 s90, s63
	s_add_co_i32 s89, s88, -1
	s_delay_alu instid0(SALU_CYCLE_1) | instskip(NEXT) | instid1(SALU_CYCLE_1)
	s_xor_b32 s91, s89, 0x80000000
	s_fmac_f32 s90, s91, s88
	s_mov_b32 s91, s63
	s_delay_alu instid0(SALU_CYCLE_2) | instskip(SKIP_2) | instid1(SALU_CYCLE_1)
	s_cmp_le_f32 s90, 0
	s_cselect_b32 s89, s89, s88
	s_add_co_i32 s90, s88, 1
	s_xor_b32 s92, s90, 0x80000000
	s_delay_alu instid0(SALU_CYCLE_1) | instskip(SKIP_1) | instid1(SALU_CYCLE_2)
	s_fmac_f32 s91, s92, s88
	v_cmp_class_f32_e64 s88, s63, 0x260
	s_cmp_gt_f32 s91, 0
	s_cselect_b32 s89, s90, s89
	s_cmp_lt_f32 s59, 0xf800000
	s_mul_f32 s59, s89, 0x37800000
	s_delay_alu instid0(SALU_CYCLE_3) | instskip(SKIP_2) | instid1(SALU_CYCLE_1)
	s_cselect_b32 s59, s59, s89
	s_and_b32 s88, s88, exec_lo
	s_cselect_b32 s59, s63, s59
	v_div_scale_f32 v10, null, s59, s59, 1.0
	s_delay_alu instid0(VALU_DEP_1)
	v_rcp_f32_e32 v12, v10
	v_nop
	v_xor_b32_e32 v10, 0x80000000, v10
	s_delay_alu instid0(TRANS32_DEP_1) | instid1(VALU_DEP_1)
	v_fma_f32 v13, v10, v12, 1.0
	s_delay_alu instid0(VALU_DEP_1) | instskip(SKIP_1) | instid1(VALU_DEP_1)
	v_fmac_f32_e32 v12, v13, v12
	v_div_scale_f32 v13, vcc_lo, 1.0, s59, 1.0
	v_mul_f32_e32 v16, v13, v12
	s_delay_alu instid0(VALU_DEP_1) | instskip(NEXT) | instid1(VALU_DEP_1)
	v_fma_f32 v17, v10, v16, v13
	v_fmac_f32_e32 v16, v17, v12
	s_delay_alu instid0(VALU_DEP_1) | instskip(NEXT) | instid1(VALU_DEP_1)
	v_fmac_f32_e32 v13, v10, v16
	v_div_fmas_f32 v10, v13, v12, v16
	s_delay_alu instid0(VALU_DEP_1) | instskip(NEXT) | instid1(VALU_DEP_1)
	v_div_fixup_f32 v10, v10, s59, 1.0
	v_mul_f32_e32 v11, v11, v10
.LBB31_126:                             ;   in Loop: Header=BB31_118 Depth=2
	s_delay_alu instid0(VALU_DEP_1) | instskip(NEXT) | instid1(VALU_DEP_1)
	v_pk_mul_f32 v[8:9], v[8:9], v[10:11]
	v_sub_f32_e32 v9, v9, v8
	s_branch .LBB31_128
.LBB31_127:                             ;   in Loop: Header=BB31_118 Depth=2
	s_wait_xcnt 0x0
	v_dual_mov_b32 v10, 1.0 :: v_dual_mov_b32 v11, 0
.LBB31_128:                             ;   in Loop: Header=BB31_118 Depth=2
	s_wait_xcnt 0x1
	s_add_nc_u64 s[88:89], s[84:85], s[86:87]
	s_wait_xcnt 0x0
	s_add_nc_u64 s[96:97], s[82:83], s[86:87]
	s_clause 0x1
	global_store_b32 v3, v9, s[88:89]
	global_load_b32 v8, v3, s[96:97]
	s_add_nc_u64 s[100:101], s[68:69], s[86:87]
	s_add_nc_u64 s[98:99], s[70:71], s[86:87]
	global_load_b32 v9, v3, s[100:101]
	v_cmp_ne_u32_e32 vcc_lo, 1, v14
	s_add_nc_u64 s[88:89], s[78:79], s[86:87]
	s_add_nc_u64 s[90:91], s[66:67], s[86:87]
	s_and_b32 vcc_lo, exec_lo, vcc_lo
	s_wait_loadcnt 0x1
	v_mul_f32_e32 v12, v11, v8
	s_wait_loadcnt 0x0
	s_delay_alu instid0(VALU_DEP_1)
	v_fmac_f32_e32 v12, v10, v9
	s_clause 0x1
	global_store_b32 v3, v12, s[96:97]
	global_load_b32 v12, v3, s[98:99]
	s_wait_loadcnt 0x0
	v_mul_f32_e32 v13, v11, v12
	global_store_b32 v3, v13, s[98:99]
	s_cbranch_vccnz .LBB31_130
; %bb.129:                              ;   in Loop: Header=BB31_118 Depth=2
	s_clause 0x1
	global_store_b32 v3, v11, s[88:89]
	global_store_b32 v3, v10, s[90:91]
.LBB31_130:                             ;   in Loop: Header=BB31_118 Depth=2
	s_and_not1_b32 vcc_lo, exec_lo, s47
	s_add_nc_u64 s[92:93], s[76:77], s[86:87]
	s_add_nc_u64 s[94:95], s[74:75], s[86:87]
	s_cbranch_vccnz .LBB31_132
; %bb.131:                              ;   in Loop: Header=BB31_118 Depth=2
	s_clause 0x1
	global_store_b32 v3, v11, s[92:93]
	global_store_b32 v3, v10, s[94:95]
.LBB31_132:                             ;   in Loop: Header=BB31_118 Depth=2
	s_wait_xcnt 0x0
	v_xor_b32_e32 v13, 0x80000000, v10
	s_delay_alu instid0(VALU_DEP_1) | instskip(NEXT) | instid1(VALU_DEP_1)
	v_dual_mul_f32 v10, v10, v8 :: v_dual_mul_f32 v8, v12, v13
	v_xor_b32_e32 v10, 0x80000000, v10
	s_delay_alu instid0(VALU_DEP_2) | instskip(NEXT) | instid1(VALU_DEP_2)
	v_cmp_eq_f32_e32 vcc_lo, 0, v8
	v_fmac_f32_e32 v10, v11, v9
	s_cbranch_vccnz .LBB31_136
; %bb.133:                              ;   in Loop: Header=BB31_118 Depth=2
	s_delay_alu instid0(VALU_DEP_1)
	v_cmp_neq_f32_e32 vcc_lo, 0, v10
	s_cbranch_vccz .LBB31_137
; %bb.134:                              ;   in Loop: Header=BB31_118 Depth=2
	v_and_b32_e32 v9, 0x7fffffff, v8
	v_and_b32_e32 v11, 0x7fffffff, v10
	s_delay_alu instid0(VALU_DEP_1)
	v_cmp_ngt_f32_e32 vcc_lo, v9, v11
	s_cbranch_vccz .LBB31_138
; %bb.135:                              ;   in Loop: Header=BB31_118 Depth=2
	v_div_scale_f32 v9, null, v10, v10, -v8
	v_div_scale_f32 v13, vcc_lo, -v8, v10, -v8
	s_delay_alu instid0(VALU_DEP_2)
	v_rcp_f32_e32 v11, v9
	v_nop
	v_xor_b32_e32 v9, 0x80000000, v9
	s_delay_alu instid0(TRANS32_DEP_1) | instid1(VALU_DEP_1)
	v_fma_f32 v12, v9, v11, 1.0
	s_delay_alu instid0(VALU_DEP_1) | instskip(NEXT) | instid1(VALU_DEP_1)
	v_fmac_f32_e32 v11, v12, v11
	v_mul_f32_e32 v12, v13, v11
	s_delay_alu instid0(VALU_DEP_1) | instskip(NEXT) | instid1(VALU_DEP_1)
	v_fma_f32 v16, v9, v12, v13
	v_fmac_f32_e32 v12, v16, v11
	s_delay_alu instid0(VALU_DEP_1) | instskip(NEXT) | instid1(VALU_DEP_1)
	v_fmac_f32_e32 v13, v9, v12
	v_div_fmas_f32 v9, v13, v11, v12
	s_delay_alu instid0(VALU_DEP_1) | instskip(NEXT) | instid1(VALU_DEP_1)
	v_div_fixup_f32 v9, v9, v10, -v8
	v_readfirstlane_b32 s0, v9
	s_fmaak_f32 s0, s0, s0, 0x3f800000
	s_delay_alu instid0(SALU_CYCLE_3) | instskip(SKIP_1) | instid1(SALU_CYCLE_2)
	s_mul_f32 s14, s0, 0x4f800000
	s_cmp_lt_f32 s0, 0xf800000
	s_cselect_b32 s14, s14, s0
	s_delay_alu instid0(SALU_CYCLE_1) | instskip(SKIP_1) | instid1(TRANS32_DEP_1)
	v_s_sqrt_f32 s15, s14
	s_mov_b32 s49, s14
	s_add_co_i32 s48, s15, -1
	s_delay_alu instid0(SALU_CYCLE_1) | instskip(NEXT) | instid1(SALU_CYCLE_1)
	s_xor_b32 s59, s48, 0x80000000
	s_fmac_f32 s49, s59, s15
	s_mov_b32 s59, s14
	s_delay_alu instid0(SALU_CYCLE_2) | instskip(SKIP_2) | instid1(SALU_CYCLE_1)
	s_cmp_le_f32 s49, 0
	s_cselect_b32 s48, s48, s15
	s_add_co_i32 s49, s15, 1
	s_xor_b32 s63, s49, 0x80000000
	s_delay_alu instid0(SALU_CYCLE_1) | instskip(SKIP_1) | instid1(SALU_CYCLE_2)
	s_fmac_f32 s59, s63, s15
	v_cmp_class_f32_e64 s15, s14, 0x260
	s_cmp_gt_f32 s59, 0
	s_cselect_b32 s48, s49, s48
	s_cmp_lt_f32 s0, 0xf800000
	s_mul_f32 s0, s48, 0x37800000
	s_delay_alu instid0(SALU_CYCLE_3) | instskip(SKIP_2) | instid1(SALU_CYCLE_1)
	s_cselect_b32 s0, s0, s48
	s_and_b32 s15, s15, exec_lo
	s_cselect_b32 s0, s14, s0
	v_div_scale_f32 v11, null, s0, s0, 1.0
	s_delay_alu instid0(VALU_DEP_1)
	v_rcp_f32_e32 v12, v11
	v_nop
	v_xor_b32_e32 v11, 0x80000000, v11
	s_delay_alu instid0(TRANS32_DEP_1) | instid1(VALU_DEP_1)
	v_fma_f32 v13, v11, v12, 1.0
	s_delay_alu instid0(VALU_DEP_1) | instskip(SKIP_1) | instid1(VALU_DEP_1)
	v_fmac_f32_e32 v12, v13, v12
	v_div_scale_f32 v13, vcc_lo, 1.0, s0, 1.0
	v_mul_f32_e32 v16, v13, v12
	s_delay_alu instid0(VALU_DEP_1) | instskip(NEXT) | instid1(VALU_DEP_1)
	v_fma_f32 v17, v11, v16, v13
	v_fmac_f32_e32 v16, v17, v12
	s_delay_alu instid0(VALU_DEP_1) | instskip(NEXT) | instid1(VALU_DEP_1)
	v_fmac_f32_e32 v13, v11, v16
	v_div_fmas_f32 v11, v13, v12, v16
	s_delay_alu instid0(VALU_DEP_1) | instskip(NEXT) | instid1(VALU_DEP_1)
	v_div_fixup_f32 v12, v11, s0, 1.0
	v_mul_f32_e32 v13, v9, v12
	s_cbranch_execz .LBB31_139
	s_branch .LBB31_140
.LBB31_136:                             ;   in Loop: Header=BB31_118 Depth=2
	v_dual_mov_b32 v13, 0 :: v_dual_mov_b32 v12, 1.0
	s_branch .LBB31_142
.LBB31_137:                             ;   in Loop: Header=BB31_118 Depth=2
	v_xor_b32_e32 v10, 0x80000000, v8
                                        ; implicit-def: $vgpr12
	s_cbranch_execnz .LBB31_141
	s_branch .LBB31_142
.LBB31_138:                             ;   in Loop: Header=BB31_118 Depth=2
                                        ; implicit-def: $vgpr13
.LBB31_139:                             ;   in Loop: Header=BB31_118 Depth=2
	v_div_scale_f32 v9, null, v8, v8, -v10
	v_div_scale_f32 v13, vcc_lo, -v10, v8, -v10
	s_delay_alu instid0(VALU_DEP_2)
	v_rcp_f32_e32 v11, v9
	v_nop
	v_xor_b32_e32 v9, 0x80000000, v9
	s_delay_alu instid0(TRANS32_DEP_1) | instid1(VALU_DEP_1)
	v_fma_f32 v12, v9, v11, 1.0
	s_delay_alu instid0(VALU_DEP_1) | instskip(NEXT) | instid1(VALU_DEP_1)
	v_fmac_f32_e32 v11, v12, v11
	v_mul_f32_e32 v12, v13, v11
	s_delay_alu instid0(VALU_DEP_1) | instskip(NEXT) | instid1(VALU_DEP_1)
	v_fma_f32 v16, v9, v12, v13
	v_fmac_f32_e32 v12, v16, v11
	s_delay_alu instid0(VALU_DEP_1) | instskip(NEXT) | instid1(VALU_DEP_1)
	v_fmac_f32_e32 v13, v9, v12
	v_div_fmas_f32 v9, v13, v11, v12
	s_delay_alu instid0(VALU_DEP_1) | instskip(NEXT) | instid1(VALU_DEP_1)
	v_div_fixup_f32 v9, v9, v8, -v10
	v_readfirstlane_b32 s59, v9
	s_fmaak_f32 s59, s59, s59, 0x3f800000
	s_delay_alu instid0(SALU_CYCLE_3) | instskip(SKIP_1) | instid1(SALU_CYCLE_2)
	s_mul_f32 s63, s59, 0x4f800000
	s_cmp_lt_f32 s59, 0xf800000
	s_cselect_b32 s14, s63, s59
	s_delay_alu instid0(SALU_CYCLE_1) | instskip(SKIP_1) | instid1(TRANS32_DEP_1)
	v_s_sqrt_f32 s48, s14
	s_mov_b32 s63, s14
	s_add_co_i32 s49, s48, -1
	s_delay_alu instid0(SALU_CYCLE_1) | instskip(NEXT) | instid1(SALU_CYCLE_1)
	s_xor_b32 s15, s49, 0x80000000
	s_fmac_f32 s63, s15, s48
	s_delay_alu instid0(SALU_CYCLE_3) | instskip(SKIP_3) | instid1(SALU_CYCLE_1)
	s_cmp_le_f32 s63, 0
	s_mov_b32 s63, s14
	s_cselect_b32 s15, s49, s48
	s_add_co_i32 s49, s48, 1
	s_xor_b32 s0, s49, 0x80000000
	s_delay_alu instid0(SALU_CYCLE_1) | instskip(SKIP_1) | instid1(SALU_CYCLE_2)
	s_fmac_f32 s63, s0, s48
	v_cmp_class_f32_e64 s0, s14, 0x260
	s_cmp_gt_f32 s63, 0
	s_cselect_b32 s15, s49, s15
	s_cmp_lt_f32 s59, 0xf800000
	s_mul_f32 s48, s15, 0x37800000
	s_delay_alu instid0(SALU_CYCLE_3) | instskip(SKIP_2) | instid1(SALU_CYCLE_1)
	s_cselect_b32 s15, s48, s15
	s_and_b32 s0, s0, exec_lo
	s_cselect_b32 s0, s14, s15
	v_div_scale_f32 v11, null, s0, s0, 1.0
	s_delay_alu instid0(VALU_DEP_1)
	v_rcp_f32_e32 v12, v11
	v_nop
	v_xor_b32_e32 v11, 0x80000000, v11
	s_delay_alu instid0(TRANS32_DEP_1) | instid1(VALU_DEP_1)
	v_fma_f32 v13, v11, v12, 1.0
	s_delay_alu instid0(VALU_DEP_1) | instskip(SKIP_1) | instid1(VALU_DEP_1)
	v_fmac_f32_e32 v12, v13, v12
	v_div_scale_f32 v13, vcc_lo, 1.0, s0, 1.0
	v_mul_f32_e32 v16, v13, v12
	s_delay_alu instid0(VALU_DEP_1) | instskip(NEXT) | instid1(VALU_DEP_1)
	v_fma_f32 v17, v11, v16, v13
	v_fmac_f32_e32 v16, v17, v12
	s_delay_alu instid0(VALU_DEP_1) | instskip(NEXT) | instid1(VALU_DEP_1)
	v_fmac_f32_e32 v13, v11, v16
	v_div_fmas_f32 v11, v13, v12, v16
	s_delay_alu instid0(VALU_DEP_1) | instskip(NEXT) | instid1(VALU_DEP_1)
	v_div_fixup_f32 v13, v11, s0, 1.0
	v_mul_f32_e32 v12, v9, v13
.LBB31_140:                             ;   in Loop: Header=BB31_118 Depth=2
	v_mov_b32_e32 v11, v8
	s_delay_alu instid0(VALU_DEP_1) | instskip(NEXT) | instid1(VALU_DEP_1)
	v_pk_mul_f32 v[10:11], v[10:11], v[12:13]
	v_sub_f32_e32 v10, v10, v11
	s_branch .LBB31_142
.LBB31_141:                             ;   in Loop: Header=BB31_118 Depth=2
	v_dual_mov_b32 v13, 1.0 :: v_dual_mov_b32 v12, 0
.LBB31_142:                             ;   in Loop: Header=BB31_118 Depth=2
	s_clause 0x2
	global_store_b32 v3, v10, s[100:101]
	global_load_b32 v9, v3, s[98:99]
	global_load_b32 v10, v3, s[96:97]
	s_cmp_ge_i32 s17, s7
	s_wait_loadcnt 0x1
	v_mul_f32_e32 v11, v12, v9
	s_wait_loadcnt 0x0
	s_delay_alu instid0(VALU_DEP_1)
	v_fmac_f32_e32 v11, v13, v10
	global_store_b32 v3, v11, s[98:99]
	s_cbranch_scc0 .LBB31_145
; %bb.143:                              ;   in Loop: Header=BB31_118 Depth=2
	v_cmp_ne_u32_e32 vcc_lo, 1, v15
	s_cbranch_vccz .LBB31_146
.LBB31_144:                             ;   in Loop: Header=BB31_118 Depth=2
	s_and_not1_b32 vcc_lo, exec_lo, s16
	s_cbranch_vccnz .LBB31_117
	s_branch .LBB31_147
.LBB31_145:                             ;   in Loop: Header=BB31_118 Depth=2
	s_wait_xcnt 0x1
	s_add_nc_u64 s[96:97], s[80:81], s[86:87]
	s_wait_xcnt 0x0
	v_xor_b32_e32 v11, 0x80000000, v13
	global_load_b32 v8, v3, s[96:97]
	s_wait_loadcnt 0x0
	v_mul_f32_e32 v16, v12, v8
	v_mul_f32_e32 v8, v8, v11
	global_store_b32 v3, v16, s[96:97]
	v_cmp_ne_u32_e32 vcc_lo, 1, v15
	s_cbranch_vccnz .LBB31_144
.LBB31_146:                             ;   in Loop: Header=BB31_118 Depth=2
	s_clause 0x1
	global_store_b32 v3, v12, s[88:89]
	global_store_b32 v3, v13, s[90:91]
	s_and_not1_b32 vcc_lo, exec_lo, s16
	s_cbranch_vccnz .LBB31_117
.LBB31_147:                             ;   in Loop: Header=BB31_118 Depth=2
	s_clause 0x1
	global_store_b32 v3, v12, s[92:93]
	global_store_b32 v3, v13, s[94:95]
	s_branch .LBB31_117
.LBB31_148:                             ;   in Loop: Header=BB31_11 Depth=1
	s_and_b32 s16, s46, exec_lo
	s_cselect_b32 s7, s7, 0
	s_delay_alu instid0(SALU_CYCLE_1)
	v_mov_b32_e32 v8, s7
	global_store_b32 v8, v9, s[64:65] scale_offset
.LBB31_149:                             ;   in Loop: Header=BB31_11 Depth=1
	s_wait_xcnt 0x0
	s_or_b32 exec_lo, exec_lo, s53
	s_delay_alu instid0(SALU_CYCLE_1)
	s_and_not1_b32 vcc_lo, exec_lo, s103
	s_wait_storecnt 0x0
	s_barrier_signal -1
	s_barrier_wait -1
	s_cbranch_vccz .LBB31_152
; %bb.150:                              ;   in Loop: Header=BB31_11 Depth=1
	s_and_not1_b32 vcc_lo, exec_lo, s104
	s_cbranch_vccz .LBB31_158
.LBB31_151:                             ;   in Loop: Header=BB31_11 Depth=1
	s_and_not1_b32 vcc_lo, exec_lo, vcc_hi
	s_cbranch_vccnz .LBB31_10
	s_branch .LBB31_164
.LBB31_152:                             ;   in Loop: Header=BB31_11 Depth=1
	s_mov_b32 s7, exec_lo
	v_readlane_b32 s0, v32, 2
	s_and_b32 s0, s7, s0
	s_delay_alu instid0(SALU_CYCLE_1)
	s_mov_b32 exec_lo, s0
	s_cbranch_execz .LBB31_157
; %bb.153:                              ;   in Loop: Header=BB31_11 Depth=1
	s_load_b32 s0, s[38:39], 0xc
	s_lshl_b64 s[46:47], s[54:55], 3
	s_add_co_i32 s14, s50, -1
	s_cmp_eq_u32 s58, 0
	s_add_nc_u64 s[64:65], s[30:31], s[46:47]
	s_cselect_b32 s66, s50, 0
	s_cselect_b32 s74, s14, 0
	s_lshl_b32 s14, s58, 1
	s_ashr_i32 s53, s52, 31
	s_ashr_i32 s59, s58, 31
	s_add_co_i32 s76, s14, -2
	s_lshl_b64 s[78:79], s[52:53], 2
	s_ashr_i32 s75, s74, 31
	s_lshl_b64 s[46:47], s[58:59], 1
	s_ashr_i32 s67, s66, 31
	s_ashr_i32 s77, s76, 31
	s_sub_nc_u64 s[78:79], s[78:79], s[56:57]
	s_lshl_b64 s[80:81], s[74:75], 2
	s_lshl_b64 s[82:83], s[60:61], 2
	v_dual_add_nc_u32 v8, s66, v1 :: v_dual_mov_b32 v10, v1
	v_mov_b32_e32 v22, v0
	s_add_nc_u64 s[68:69], s[46:47], s[66:67]
	s_lshl_b64 s[46:47], s[76:77], 3
	s_wait_kmcnt 0x0
	s_and_b32 s17, s0, 0xffff
	s_add_nc_u64 s[74:75], s[78:79], 20
	s_add_nc_u64 s[78:79], s[80:81], s[82:83]
	s_lshl_b64 s[80:81], s[76:77], 2
	s_mov_b32 s16, 0
	s_or_b64 s[70:71], s[76:77], 1
	s_or_b64 s[72:73], s[46:47], 8
	s_mul_i32 s46, s11, s17
	s_add_nc_u64 s[76:77], s[26:27], s[78:79]
	s_or_b64 s[78:79], s[80:81], 4
.LBB31_154:                             ;   Parent Loop BB31_11 Depth=1
                                        ; =>  This Loop Header: Depth=2
                                        ;       Child Loop BB31_155 Depth 3
	v_mad_u32 v9, v22, s11, s66
	v_ashrrev_i32_e32 v11, 31, v10
	s_mov_b32 s47, s50
	s_mov_b64 s[80:81], s[76:77]
	global_load_b64 v[12:13], v9, s[64:65] scale_offset
	s_wait_xcnt 0x0
	v_ashrrev_i32_e32 v9, 31, v8
	v_add_nc_u64_e32 v[14:15], s[68:69], v[10:11]
	s_delay_alu instid0(VALU_DEP_2)
	v_lshl_add_u64 v[16:17], v[8:9], 3, s[64:65]
.LBB31_155:                             ;   Parent Loop BB31_11 Depth=1
                                        ;     Parent Loop BB31_154 Depth=2
                                        ; =>    This Inner Loop Header: Depth=3
	s_delay_alu instid0(VALU_DEP_2)
	v_lshl_add_u64 v[18:19], v[14:15], 3, s[64:65]
	s_add_nc_u64 s[82:83], s[80:81], s[74:75]
	v_add_nc_u64_e32 v[14:15], s[70:71], v[14:15]
	s_clause 0x1
	global_load_b32 v24, v3, s[80:81] offset:16
	global_load_b32 v26, v3, s[82:83]
	global_load_b64 v[28:29], v[18:19], off offset:-8
	s_add_co_i32 s47, s47, -1
	s_wait_xcnt 0x2
	s_add_nc_u64 s[80:81], s[80:81], s[78:79]
	s_cmp_eq_u32 s47, 0
	s_wait_loadcnt 0x0
	v_pk_mul_f32 v[30:31], v[28:29], v[26:27] op_sel_hi:[1,0]
	s_delay_alu instid0(VALU_DEP_1)
	v_pk_fma_f32 v[30:31], v[12:13], v[24:25], v[30:31] op_sel_hi:[1,0,1] neg_lo:[0,0,1] neg_hi:[0,0,1]
	v_pk_mul_f32 v[12:13], v[12:13], v[26:27] op_sel_hi:[1,0]
	global_store_b64 v[16:17], v[30:31], off
	s_wait_xcnt 0x0
	v_add_nc_u64_e32 v[16:17], s[72:73], v[16:17]
	v_pk_fma_f32 v[12:13], v[28:29], v[24:25], v[12:13] op_sel_hi:[1,0,1]
	s_cbranch_scc0 .LBB31_155
; %bb.156:                              ;   in Loop: Header=BB31_154 Depth=2
	v_dual_add_nc_u32 v22, s17, v22 :: v_dual_add_nc_u32 v8, s46, v8
	v_add_nc_u32_e32 v10, s46, v10
	global_store_b64 v[18:19], v[12:13], off offset:-8
	v_cmp_le_i32_e32 vcc_lo, s21, v22
	s_or_b32 s16, vcc_lo, s16
	s_wait_xcnt 0x0
	s_and_not1_b32 exec_lo, exec_lo, s16
	s_cbranch_execnz .LBB31_154
.LBB31_157:                             ;   in Loop: Header=BB31_11 Depth=1
	s_or_b32 exec_lo, exec_lo, s7
	s_delay_alu instid0(SALU_CYCLE_1)
	s_and_not1_b32 vcc_lo, exec_lo, s104
	s_cbranch_vccnz .LBB31_151
.LBB31_158:                             ;   in Loop: Header=BB31_11 Depth=1
	s_and_saveexec_b32 s7, s1
	s_cbranch_execz .LBB31_163
; %bb.159:                              ;   in Loop: Header=BB31_11 Depth=1
	s_mul_i32 s46, s54, s9
	s_load_b32 s0, s[38:39], 0xc
	s_ashr_i32 s47, s46, 31
	s_add_co_i32 s14, s50, -1
	s_lshl_b64 s[46:47], s[46:47], 3
	s_cmp_eq_u32 s58, 0
	s_add_nc_u64 s[64:65], s[28:29], s[46:47]
	s_cselect_b32 s15, s50, 0
	s_cselect_b32 s14, s14, 0
	s_lshl_b32 s48, s58, 1
	s_add_co_i32 s70, s14, s62
	s_add_co_i32 s14, s15, s48
	s_ashr_i32 s53, s52, 31
	s_add_co_i32 s14, s14, -1
	s_ashr_i32 s71, s70, 31
	v_mad_u32 v12, s9, s14, v0
	s_add_co_i32 s72, s48, -2
	s_mul_i32 s17, s15, s9
	s_lshl_b64 s[68:69], s[60:61], 2
	s_lshl_b64 s[46:47], s[52:53], 2
	;; [unrolled: 1-line block ×3, first 2 shown]
	s_ashr_i32 s73, s72, 31
	v_dual_mov_b32 v14, v0 :: v_dual_add_nc_u32 v13, s17, v0
	s_sub_nc_u64 s[46:47], s[46:47], s[56:57]
	s_add_nc_u64 s[68:69], s[68:69], s[70:71]
	s_lshl_b64 s[70:71], s[72:73], 2
	s_mov_b32 s16, 0
	s_add_nc_u64 s[66:67], s[46:47], 20
	s_wait_kmcnt 0x0
	s_and_b32 s46, s0, 0xffff
	s_add_nc_u64 s[68:69], s[26:27], s[68:69]
	s_or_b64 s[70:71], s[70:71], 4
	s_mul_i32 s47, s9, s51
.LBB31_160:                             ;   Parent Loop BB31_11 Depth=1
                                        ; =>  This Loop Header: Depth=2
                                        ;       Child Loop BB31_161 Depth 3
	v_add_nc_u32_e32 v8, s17, v14
	s_mov_b32 s51, 0
	s_mov_b64 s[72:73], s[68:69]
	s_mov_b32 s53, s50
	global_load_b64 v[8:9], v8, s[64:65] scale_offset
.LBB31_161:                             ;   Parent Loop BB31_11 Depth=1
                                        ;     Parent Loop BB31_160 Depth=2
                                        ; =>    This Inner Loop Header: Depth=3
	s_wait_xcnt 0x0
	v_dual_add_nc_u32 v10, s51, v12 :: v_dual_add_nc_u32 v11, s51, v13
	s_add_nc_u64 s[74:75], s[72:73], s[66:67]
	s_clause 0x1
	global_load_b32 v16, v3, s[72:73] offset:16
	global_load_b32 v18, v3, s[74:75]
	global_load_b64 v[22:23], v10, s[64:65] scale_offset
	s_add_co_i32 s53, s53, -1
	s_add_co_i32 s51, s51, s47
	s_cmp_eq_u32 s53, 0
	s_wait_xcnt 0x2
	s_add_nc_u64 s[72:73], s[72:73], s[70:71]
	s_wait_loadcnt 0x0
	v_pk_mul_f32 v[24:25], v[22:23], v[18:19] op_sel_hi:[1,0]
	v_pk_mul_f32 v[18:19], v[8:9], v[18:19] op_sel_hi:[1,0]
	s_delay_alu instid0(VALU_DEP_2) | instskip(NEXT) | instid1(VALU_DEP_2)
	v_pk_fma_f32 v[24:25], v[8:9], v[16:17], v[24:25] op_sel_hi:[1,0,1] neg_lo:[0,0,1] neg_hi:[0,0,1]
	v_pk_fma_f32 v[8:9], v[22:23], v[16:17], v[18:19] op_sel_hi:[1,0,1]
	global_store_b64 v11, v[24:25], s[64:65] scale_offset
	s_cbranch_scc0 .LBB31_161
; %bb.162:                              ;   in Loop: Header=BB31_160 Depth=2
	v_dual_add_nc_u32 v14, s46, v14 :: v_dual_add_nc_u32 v13, s46, v13
	s_wait_xcnt 0x0
	v_dual_ashrrev_i32 v11, 31, v10 :: v_dual_add_nc_u32 v12, s46, v12
	s_delay_alu instid0(VALU_DEP_2) | instskip(NEXT) | instid1(VALU_DEP_2)
	v_cmp_le_i32_e32 vcc_lo, s22, v14
	v_lshl_add_u64 v[10:11], v[10:11], 3, s[64:65]
	s_or_b32 s16, vcc_lo, s16
	global_store_b64 v[10:11], v[8:9], off
	s_wait_xcnt 0x0
	s_and_not1_b32 exec_lo, exec_lo, s16
	s_cbranch_execnz .LBB31_160
.LBB31_163:                             ;   in Loop: Header=BB31_11 Depth=1
	s_or_b32 exec_lo, exec_lo, s7
	s_delay_alu instid0(SALU_CYCLE_1)
	s_and_not1_b32 vcc_lo, exec_lo, vcc_hi
	s_cbranch_vccnz .LBB31_10
.LBB31_164:                             ;   in Loop: Header=BB31_11 Depth=1
	s_and_saveexec_b32 s7, s6
	s_cbranch_execz .LBB31_9
; %bb.165:                              ;   in Loop: Header=BB31_11 Depth=1
	s_load_b32 s0, s[38:39], 0xc
	s_lshl_b64 s[46:47], s[54:55], 3
	s_add_co_i32 s14, s50, -1
	s_cmp_eq_u32 s58, 0
	s_add_nc_u64 s[54:55], s[36:37], s[46:47]
	s_cselect_b32 s14, s14, 0
	s_cselect_b32 s64, s50, 0
	s_ashr_i32 s53, s52, 31
	s_lshl_b64 s[46:47], s[60:61], 2
	s_add_co_i32 s60, s14, s62
	s_lshl_b32 s15, s58, 1
	s_lshl_b64 s[52:53], s[52:53], 2
	s_ashr_i32 s61, s60, 31
	s_add_co_i32 s62, s15, -2
	s_sub_nc_u64 s[52:53], s[52:53], s[56:57]
	s_lshl_b64 s[56:57], s[60:61], 2
	s_ashr_i32 s59, s58, 31
	s_add_nc_u64 s[46:47], s[46:47], s[56:57]
	s_ashr_i32 s63, s62, 31
	v_dual_add_nc_u32 v8, s64, v20 :: v_dual_mov_b32 v10, v20
	v_mov_b32_e32 v22, v0
	s_wait_kmcnt 0x0
	s_and_b32 s17, s0, 0xffff
	s_add_nc_u64 s[56:57], s[26:27], s[46:47]
	s_lshl_b64 s[46:47], s[62:63], 2
	s_lshl_b64 s[60:61], s[58:59], 1
	s_ashr_i32 s65, s64, 31
	s_lshl_b64 s[66:67], s[62:63], 3
	s_mov_b32 s16, 0
	s_add_nc_u64 s[52:53], s[52:53], 20
	s_or_b64 s[58:59], s[46:47], 4
	s_add_nc_u64 s[60:61], s[60:61], s[64:65]
	s_mul_i32 s46, s35, s17
	s_or_b64 s[62:63], s[62:63], 1
	s_or_b64 s[66:67], s[66:67], 8
.LBB31_166:                             ;   Parent Loop BB31_11 Depth=1
                                        ; =>  This Loop Header: Depth=2
                                        ;       Child Loop BB31_167 Depth 3
	v_mad_u32 v9, v22, s35, s64
	v_ashrrev_i32_e32 v11, 31, v10
	s_mov_b64 s[68:69], s[56:57]
	s_mov_b32 s47, s50
	global_load_b64 v[12:13], v9, s[54:55] scale_offset
	s_wait_xcnt 0x0
	v_ashrrev_i32_e32 v9, 31, v8
	v_add_nc_u64_e32 v[14:15], s[60:61], v[10:11]
	s_delay_alu instid0(VALU_DEP_2)
	v_lshl_add_u64 v[16:17], v[8:9], 3, s[54:55]
.LBB31_167:                             ;   Parent Loop BB31_11 Depth=1
                                        ;     Parent Loop BB31_166 Depth=2
                                        ; =>    This Inner Loop Header: Depth=3
	s_delay_alu instid0(VALU_DEP_2)
	v_lshl_add_u64 v[18:19], v[14:15], 3, s[54:55]
	s_add_nc_u64 s[70:71], s[68:69], s[52:53]
	v_add_nc_u64_e32 v[14:15], s[62:63], v[14:15]
	s_clause 0x1
	global_load_b32 v24, v3, s[68:69] offset:16
	global_load_b32 v26, v3, s[70:71]
	global_load_b64 v[28:29], v[18:19], off offset:-8
	s_add_co_i32 s47, s47, -1
	s_wait_xcnt 0x2
	s_add_nc_u64 s[68:69], s[68:69], s[58:59]
	s_cmp_eq_u32 s47, 0
	s_wait_loadcnt 0x0
	v_pk_mul_f32 v[30:31], v[28:29], v[26:27] op_sel_hi:[1,0]
	s_delay_alu instid0(VALU_DEP_1)
	v_pk_fma_f32 v[30:31], v[12:13], v[24:25], v[30:31] op_sel_hi:[1,0,1] neg_lo:[0,0,1] neg_hi:[0,0,1]
	v_pk_mul_f32 v[12:13], v[12:13], v[26:27] op_sel_hi:[1,0]
	global_store_b64 v[16:17], v[30:31], off
	s_wait_xcnt 0x0
	v_add_nc_u64_e32 v[16:17], s[66:67], v[16:17]
	v_pk_fma_f32 v[12:13], v[28:29], v[24:25], v[12:13] op_sel_hi:[1,0,1]
	s_cbranch_scc0 .LBB31_167
; %bb.168:                              ;   in Loop: Header=BB31_166 Depth=2
	v_dual_add_nc_u32 v22, s17, v22 :: v_dual_add_nc_u32 v8, s46, v8
	v_add_nc_u32_e32 v10, s46, v10
	global_store_b64 v[18:19], v[12:13], off offset:-8
	v_cmp_le_i32_e32 vcc_lo, s23, v22
	s_or_b32 s16, vcc_lo, s16
	s_wait_xcnt 0x0
	s_and_not1_b32 exec_lo, exec_lo, s16
	s_cbranch_execnz .LBB31_166
	s_branch .LBB31_9
.LBB31_169:                             ;   in Loop: Header=BB31_11 Depth=1
	s_wait_xcnt 0x0
	v_mov_b32_e32 v13, s51
	v_xor_b32_e32 v15, 0x80000000, v11
	global_load_b32 v8, v13, s[76:77] offset:-4 scale_offset
	s_wait_loadcnt 0x0
	v_dual_mul_f32 v16, v10, v8 :: v_dual_mul_f32 v8, v8, v15
	global_store_b32 v13, v16, s[76:77] offset:-4 scale_offset
	s_and_b32 s7, s20, s7
	s_delay_alu instid0(SALU_CYCLE_1)
	v_cndmask_b32_e64 v15, 0, 1, s7
	s_and_not1_b32 vcc_lo, exec_lo, s7
	s_cbranch_vccnz .LBB31_113
.LBB31_170:                             ;   in Loop: Header=BB31_11 Depth=1
	s_wait_xcnt 0x0
	v_mov_b32_e32 v13, s68
	s_clause 0x1
	global_store_b32 v3, v10, s[82:83] offset:12
	global_store_b32 v13, v11, s[82:83] offset:12 scale_offset
	s_xor_b32 s7, s46, -1
	s_delay_alu instid0(SALU_CYCLE_1) | instskip(NEXT) | instid1(SALU_CYCLE_1)
	s_or_b32 s17, s102, s7
	s_and_b32 vcc_lo, exec_lo, s17
	s_cbranch_vccz .LBB31_114
	s_branch .LBB31_115
.LBB31_171:
	s_endpgm
	.section	.rodata,"a",@progbits
	.p2align	6, 0x0
	.amdhsa_kernel _ZN9rocsolver6v33100L13bdsqr_computeILi256E19rocblas_complex_numIfEfPS3_S4_S4_EEviiiiPT1_lS6_lT2_iilT3_iilT4_iiliS5_S5_S5_S5_PiS6_ilSA_
		.amdhsa_group_segment_fixed_size 1040
		.amdhsa_private_segment_fixed_size 0
		.amdhsa_kernarg_size 440
		.amdhsa_user_sgpr_count 2
		.amdhsa_user_sgpr_dispatch_ptr 0
		.amdhsa_user_sgpr_queue_ptr 0
		.amdhsa_user_sgpr_kernarg_segment_ptr 1
		.amdhsa_user_sgpr_dispatch_id 0
		.amdhsa_user_sgpr_kernarg_preload_length 0
		.amdhsa_user_sgpr_kernarg_preload_offset 0
		.amdhsa_user_sgpr_private_segment_size 0
		.amdhsa_wavefront_size32 1
		.amdhsa_uses_dynamic_stack 0
		.amdhsa_enable_private_segment 0
		.amdhsa_system_sgpr_workgroup_id_x 1
		.amdhsa_system_sgpr_workgroup_id_y 1
		.amdhsa_system_sgpr_workgroup_id_z 1
		.amdhsa_system_sgpr_workgroup_info 0
		.amdhsa_system_vgpr_workitem_id 0
		.amdhsa_next_free_vgpr 33
		.amdhsa_next_free_sgpr 105
		.amdhsa_named_barrier_count 0
		.amdhsa_reserve_vcc 1
		.amdhsa_float_round_mode_32 0
		.amdhsa_float_round_mode_16_64 0
		.amdhsa_float_denorm_mode_32 3
		.amdhsa_float_denorm_mode_16_64 3
		.amdhsa_fp16_overflow 0
		.amdhsa_memory_ordered 1
		.amdhsa_forward_progress 1
		.amdhsa_inst_pref_size 74
		.amdhsa_round_robin_scheduling 0
		.amdhsa_exception_fp_ieee_invalid_op 0
		.amdhsa_exception_fp_denorm_src 0
		.amdhsa_exception_fp_ieee_div_zero 0
		.amdhsa_exception_fp_ieee_overflow 0
		.amdhsa_exception_fp_ieee_underflow 0
		.amdhsa_exception_fp_ieee_inexact 0
		.amdhsa_exception_int_div_zero 0
	.end_amdhsa_kernel
	.section	.text._ZN9rocsolver6v33100L13bdsqr_computeILi256E19rocblas_complex_numIfEfPS3_S4_S4_EEviiiiPT1_lS6_lT2_iilT3_iilT4_iiliS5_S5_S5_S5_PiS6_ilSA_,"axG",@progbits,_ZN9rocsolver6v33100L13bdsqr_computeILi256E19rocblas_complex_numIfEfPS3_S4_S4_EEviiiiPT1_lS6_lT2_iilT3_iilT4_iiliS5_S5_S5_S5_PiS6_ilSA_,comdat
.Lfunc_end31:
	.size	_ZN9rocsolver6v33100L13bdsqr_computeILi256E19rocblas_complex_numIfEfPS3_S4_S4_EEviiiiPT1_lS6_lT2_iilT3_iilT4_iiliS5_S5_S5_S5_PiS6_ilSA_, .Lfunc_end31-_ZN9rocsolver6v33100L13bdsqr_computeILi256E19rocblas_complex_numIfEfPS3_S4_S4_EEviiiiPT1_lS6_lT2_iilT3_iilT4_iiliS5_S5_S5_S5_PiS6_ilSA_
                                        ; -- End function
	.set _ZN9rocsolver6v33100L13bdsqr_computeILi256E19rocblas_complex_numIfEfPS3_S4_S4_EEviiiiPT1_lS6_lT2_iilT3_iilT4_iiliS5_S5_S5_S5_PiS6_ilSA_.num_vgpr, 33
	.set _ZN9rocsolver6v33100L13bdsqr_computeILi256E19rocblas_complex_numIfEfPS3_S4_S4_EEviiiiPT1_lS6_lT2_iilT3_iilT4_iiliS5_S5_S5_S5_PiS6_ilSA_.num_agpr, 0
	.set _ZN9rocsolver6v33100L13bdsqr_computeILi256E19rocblas_complex_numIfEfPS3_S4_S4_EEviiiiPT1_lS6_lT2_iilT3_iilT4_iiliS5_S5_S5_S5_PiS6_ilSA_.numbered_sgpr, 105
	.set _ZN9rocsolver6v33100L13bdsqr_computeILi256E19rocblas_complex_numIfEfPS3_S4_S4_EEviiiiPT1_lS6_lT2_iilT3_iilT4_iiliS5_S5_S5_S5_PiS6_ilSA_.num_named_barrier, 0
	.set _ZN9rocsolver6v33100L13bdsqr_computeILi256E19rocblas_complex_numIfEfPS3_S4_S4_EEviiiiPT1_lS6_lT2_iilT3_iilT4_iiliS5_S5_S5_S5_PiS6_ilSA_.private_seg_size, 0
	.set _ZN9rocsolver6v33100L13bdsqr_computeILi256E19rocblas_complex_numIfEfPS3_S4_S4_EEviiiiPT1_lS6_lT2_iilT3_iilT4_iiliS5_S5_S5_S5_PiS6_ilSA_.uses_vcc, 1
	.set _ZN9rocsolver6v33100L13bdsqr_computeILi256E19rocblas_complex_numIfEfPS3_S4_S4_EEviiiiPT1_lS6_lT2_iilT3_iilT4_iiliS5_S5_S5_S5_PiS6_ilSA_.uses_flat_scratch, 0
	.set _ZN9rocsolver6v33100L13bdsqr_computeILi256E19rocblas_complex_numIfEfPS3_S4_S4_EEviiiiPT1_lS6_lT2_iilT3_iilT4_iiliS5_S5_S5_S5_PiS6_ilSA_.has_dyn_sized_stack, 0
	.set _ZN9rocsolver6v33100L13bdsqr_computeILi256E19rocblas_complex_numIfEfPS3_S4_S4_EEviiiiPT1_lS6_lT2_iilT3_iilT4_iiliS5_S5_S5_S5_PiS6_ilSA_.has_recursion, 0
	.set _ZN9rocsolver6v33100L13bdsqr_computeILi256E19rocblas_complex_numIfEfPS3_S4_S4_EEviiiiPT1_lS6_lT2_iilT3_iilT4_iiliS5_S5_S5_S5_PiS6_ilSA_.has_indirect_call, 0
	.section	.AMDGPU.csdata,"",@progbits
; Kernel info:
; codeLenInByte = 9468
; TotalNumSgprs: 107
; NumVgprs: 33
; ScratchSize: 0
; MemoryBound: 0
; FloatMode: 240
; IeeeMode: 1
; LDSByteSize: 1040 bytes/workgroup (compile time only)
; SGPRBlocks: 0
; VGPRBlocks: 2
; NumSGPRsForWavesPerEU: 107
; NumVGPRsForWavesPerEU: 33
; NamedBarCnt: 0
; Occupancy: 16
; WaveLimiterHint : 1
; COMPUTE_PGM_RSRC2:SCRATCH_EN: 0
; COMPUTE_PGM_RSRC2:USER_SGPR: 2
; COMPUTE_PGM_RSRC2:TRAP_HANDLER: 0
; COMPUTE_PGM_RSRC2:TGID_X_EN: 1
; COMPUTE_PGM_RSRC2:TGID_Y_EN: 1
; COMPUTE_PGM_RSRC2:TGID_Z_EN: 1
; COMPUTE_PGM_RSRC2:TIDIG_COMP_CNT: 0
	.section	.text._ZN9rocsolver6v33100L12bdsqr_rotateI19rocblas_complex_numIfEfPS3_S4_S4_EEviiiiT1_iilT2_iilT3_iiliPiPT0_ilS8_,"axG",@progbits,_ZN9rocsolver6v33100L12bdsqr_rotateI19rocblas_complex_numIfEfPS3_S4_S4_EEviiiiT1_iilT2_iilT3_iiliPiPT0_ilS8_,comdat
	.globl	_ZN9rocsolver6v33100L12bdsqr_rotateI19rocblas_complex_numIfEfPS3_S4_S4_EEviiiiT1_iilT2_iilT3_iiliPiPT0_ilS8_ ; -- Begin function _ZN9rocsolver6v33100L12bdsqr_rotateI19rocblas_complex_numIfEfPS3_S4_S4_EEviiiiT1_iilT2_iilT3_iiliPiPT0_ilS8_
	.p2align	8
	.type	_ZN9rocsolver6v33100L12bdsqr_rotateI19rocblas_complex_numIfEfPS3_S4_S4_EEviiiiT1_iilT2_iilT3_iiliPiPT0_ilS8_,@function
_ZN9rocsolver6v33100L12bdsqr_rotateI19rocblas_complex_numIfEfPS3_S4_S4_EEviiiiT1_iilT2_iilT3_iiliPiPT0_ilS8_: ; @_ZN9rocsolver6v33100L12bdsqr_rotateI19rocblas_complex_numIfEfPS3_S4_S4_EEviiiiT1_iilT2_iilT3_iiliPiPT0_ilS8_
; %bb.0:
	s_load_b128 s[12:15], s[0:1], 0x78
	s_bfe_u32 s2, ttmp6, 0x40014
	s_lshr_b32 s3, ttmp7, 16
	s_add_co_i32 s2, s2, 1
	s_bfe_u32 s4, ttmp6, 0x40008
	s_mul_i32 s2, s3, s2
	s_getreg_b32 s26, hwreg(HW_REG_IB_STS2, 6, 4)
	s_add_co_i32 s4, s4, s2
	s_cmp_eq_u32 s26, 0
	s_mov_b32 s23, 0
	s_cselect_b32 s22, s3, s4
	s_wait_kmcnt 0x0
	s_load_b32 s2, s[14:15], s22 offset:0x8 scale_offset
	s_wait_kmcnt 0x0
	s_cmp_lg_u32 s2, 0
	s_cbranch_scc1 .LBB32_25
; %bb.1:
	s_load_b256 s[4:11], s[0:1], 0x10
	s_mov_b64 s[2:3], 0
	s_mov_b64 s[20:21], 0
	s_wait_kmcnt 0x0
	s_cmp_eq_u64 s[4:5], 0
	s_cbranch_scc1 .LBB32_3
; %bb.2:
	s_mul_u64 s[8:9], s[8:9], s[22:23]
	s_ashr_i32 s15, s6, 31
	s_lshl_b64 s[8:9], s[8:9], 3
	s_mov_b32 s14, s6
	s_add_nc_u64 s[4:5], s[4:5], s[8:9]
	s_lshl_b64 s[8:9], s[14:15], 3
	s_delay_alu instid0(SALU_CYCLE_1)
	s_add_nc_u64 s[20:21], s[4:5], s[8:9]
.LBB32_3:
	s_clause 0x1
	s_load_b64 s[4:5], s[0:1], 0x30
	s_load_b128 s[16:19], s[0:1], 0x38
	s_cmp_eq_u64 s[10:11], 0
	s_cbranch_scc1 .LBB32_5
; %bb.4:
	s_wait_kmcnt 0x0
	s_mul_u64 s[2:3], s[16:17], s[22:23]
	s_ashr_i32 s9, s4, 31
	s_lshl_b64 s[2:3], s[2:3], 3
	s_mov_b32 s8, s4
	s_add_nc_u64 s[2:3], s[10:11], s[2:3]
	s_lshl_b64 s[8:9], s[8:9], 3
	s_delay_alu instid0(SALU_CYCLE_1)
	s_add_nc_u64 s[2:3], s[2:3], s[8:9]
.LBB32_5:
	s_load_b64 s[24:25], s[0:1], 0x48
	s_wait_kmcnt 0x0
	s_cmp_eq_u64 s[18:19], 0
	s_mov_b64 s[16:17], 0
	s_cbranch_scc1 .LBB32_7
; %bb.6:
	s_load_b64 s[8:9], s[0:1], 0x50
	s_ashr_i32 s11, s24, 31
	s_mov_b32 s10, s24
	s_delay_alu instid0(SALU_CYCLE_1) | instskip(SKIP_2) | instid1(SALU_CYCLE_1)
	s_lshl_b64 s[10:11], s[10:11], 3
	s_wait_kmcnt 0x0
	s_mul_u64 s[8:9], s[8:9], s[22:23]
	s_lshl_b64 s[8:9], s[8:9], 3
	s_delay_alu instid0(SALU_CYCLE_1) | instskip(NEXT) | instid1(SALU_CYCLE_1)
	s_add_nc_u64 s[8:9], s[18:19], s[8:9]
	s_add_nc_u64 s[16:17], s[8:9], s[10:11]
.LBB32_7:
	s_load_b128 s[8:11], s[0:1], 0x60
	s_bfe_u32 s4, ttmp6, 0x40010
	s_and_b32 s6, ttmp7, 0xffff
	s_add_co_i32 s4, s4, 1
	s_bfe_u32 s14, ttmp6, 0x40004
	s_mul_i32 s4, s6, s4
	s_mul_u64 s[12:13], s[12:13], s[22:23]
	s_add_co_i32 s14, s14, s4
	s_cmp_eq_u32 s26, 0
	s_cselect_b32 s4, s6, s14
	s_lshl_b64 s[12:13], s[12:13], 2
	s_wait_kmcnt 0x0
	s_add_nc_u64 s[10:11], s[10:11], s[12:13]
	s_load_b32 s6, s[10:11], 0x8
	s_wait_kmcnt 0x0
	s_cvt_i32_f32 s30, s6
	s_delay_alu instid0(SALU_CYCLE_3)
	s_cmp_ge_i32 s4, s30
	s_cbranch_scc1 .LBB32_25
; %bb.8:
	s_clause 0x3
	s_load_b128 s[12:15], s[0:1], 0x0
	s_load_b32 s6, s[0:1], 0x94
	s_load_b32 s31, s[0:1], 0x58
	;; [unrolled: 1-line block ×3, first 2 shown]
	s_bfe_u32 s18, ttmp6, 0x4000c
	s_and_b32 s19, ttmp6, 15
	s_add_co_i32 s18, s18, 1
	s_wait_xcnt 0x0
	s_add_nc_u64 s[0:1], s[0:1], 0x88
	v_mov_b32_e32 v9, 0
	s_load_b32 s34, s[0:1], 0x4
	s_wait_kmcnt 0x0
	s_mul_i32 s12, s22, s12
	s_mul_i32 s22, ttmp9, s18
	s_lshl_b32 s18, s12, 1
	s_add_co_i32 s12, s19, s22
	s_ashr_i32 s19, s18, 31
	s_and_b32 s6, 0xffff, s6
	s_lshl_b64 s[18:19], s[18:19], 2
	s_cmp_eq_u32 s26, 0
	s_cselect_b32 s12, ttmp9, s12
	s_cmp_eq_u32 s13, 0
	v_mad_u32 v6, s12, s6, v0
	s_cselect_b32 s35, -1, 0
	s_cmp_lg_u64 s[20:21], 0
	s_cselect_b32 s1, -1, 0
	s_delay_alu instid0(VALU_DEP_1)
	v_cmp_gt_i32_e32 vcc_lo, s13, v6
	v_cmp_gt_i32_e64 s0, s14, v6
	v_mul_lo_u32 v7, v6, s7
	v_mul_lo_u32 v8, v6, s25
	s_and_b32 s36, vcc_lo, s1
	s_cmp_lg_u64 s[2:3], 0
	v_cmp_gt_i32_e32 vcc_lo, s15, v6
	s_cselect_b32 s1, -1, 0
	s_delay_alu instid0(SALU_CYCLE_1) | instskip(SKIP_3) | instid1(SALU_CYCLE_1)
	s_and_b32 s37, s0, s1
	s_cmp_lg_u64 s[16:17], 0
	s_add_nc_u64 s[0:1], s[8:9], s[18:19]
	s_cselect_b32 s6, -1, 0
	s_and_b32 s38, vcc_lo, s6
	s_branch .LBB32_12
.LBB32_9:                               ;   in Loop: Header=BB32_12 Depth=1
	v_sub_nc_u64_e64 v[2:3], v[4:5], s[22:23]
	s_delay_alu instid0(VALU_DEP_1)
	v_add_nc_u64_e32 v[2:3], s[12:13], v[2:3]
	global_store_b64 v[2:3], v[0:1], off
.LBB32_10:                              ;   in Loop: Header=BB32_12 Depth=1
	s_wait_xcnt 0x0
	s_or_b32 exec_lo, exec_lo, s9
.LBB32_11:                              ;   in Loop: Header=BB32_12 Depth=1
	s_add_co_i32 s4, s34, s4
	s_delay_alu instid0(SALU_CYCLE_1)
	s_cmp_lt_i32 s4, s30
	s_cbranch_scc0 .LBB32_25
.LBB32_12:                              ; =>This Loop Header: Depth=1
                                        ;     Child Loop BB32_16 Depth 2
                                        ;     Child Loop BB32_20 Depth 2
	;; [unrolled: 1-line block ×3, first 2 shown]
	s_lshl_b32 s6, s4, 2
	s_delay_alu instid0(SALU_CYCLE_1) | instskip(NEXT) | instid1(SALU_CYCLE_1)
	s_ashr_i32 s7, s6, 31
	s_lshl_b64 s[6:7], s[6:7], 2
	s_wait_xcnt 0x0
	s_add_nc_u64 s[12:13], s[0:1], s[6:7]
	global_load_b96 v[0:2], v9, s[12:13]
	s_wait_loadcnt 0x0
	v_readfirstlane_b32 s6, v1
	v_readfirstlane_b32 s8, v2
	;; [unrolled: 1-line block ×3, first 2 shown]
	s_cmp_le_i32 s8, s6
	s_cbranch_scc1 .LBB32_11
; %bb.13:                               ;   in Loop: Header=BB32_12 Depth=1
	global_load_b32 v0, v9, s[12:13] offset:12
	s_cmp_lg_u32 s39, 0
	s_cselect_b32 s7, -1, 0
	s_wait_loadcnt 0x0
	v_cmp_gt_i32_e32 vcc_lo, s31, v0
	s_and_b32 s7, vcc_lo, s7
	s_delay_alu instid0(SALU_CYCLE_1)
	s_and_not1_b32 vcc_lo, exec_lo, s7
	s_cbranch_vccnz .LBB32_11
; %bb.14:                               ;   in Loop: Header=BB32_12 Depth=1
	s_mul_i32 s14, s6, s33
	s_delay_alu instid0(SALU_CYCLE_1)
	s_ashr_i32 s15, s14, 31
	s_cmp_gt_i32 s39, 0
	s_cselect_b32 s40, -1, 0
	s_wait_xcnt 0x0
	s_sub_co_i32 s12, s8, s6
	s_and_saveexec_b32 s13, s36
	s_cbranch_execz .LBB32_18
; %bb.15:                               ;   in Loop: Header=BB32_12 Depth=1
	s_and_b32 s7, s40, exec_lo
	s_cselect_b32 s7, s6, s8
	s_mov_b32 s26, s39
	v_add3_u32 v4, s7, s39, v7
	v_add_nc_u32_e32 v2, s7, v7
	s_add_co_i32 s7, s12, -1
	s_and_b32 s9, s40, exec_lo
	s_cselect_b32 s22, 0, s7
	v_ashrrev_i32_e32 v5, 31, v4
	global_load_b64 v[0:1], v2, s[20:21] scale_offset
	v_ashrrev_i32_e32 v3, 31, v2
	s_ashr_i32 s9, s8, 31
	s_ashr_i32 s7, s6, 31
	;; [unrolled: 1-line block ×3, first 2 shown]
	v_lshlrev_b64_e32 v[4:5], 3, v[4:5]
	s_wait_xcnt 0x0
	v_lshlrev_b64_e32 v[2:3], 3, v[2:3]
	s_lshl_b64 s[24:25], s[8:9], 2
	s_lshl_b64 s[28:29], s[6:7], 2
	;; [unrolled: 1-line block ×4, first 2 shown]
	s_ashr_i32 s27, s39, 31
	s_sub_nc_u64 s[24:25], s[24:25], s[28:29]
	s_add_nc_u64 s[28:29], s[22:23], s[42:43]
	s_lshl_b64 s[18:19], s[26:27], 3
	s_add_nc_u64 s[22:23], s[24:25], 20
	s_add_nc_u64 s[24:25], s[10:11], s[28:29]
	s_lshl_b64 s[26:27], s[26:27], 2
	s_mov_b32 s7, s12
	s_mov_b64 s[28:29], s[20:21]
.LBB32_16:                              ;   Parent Loop BB32_12 Depth=1
                                        ; =>  This Inner Loop Header: Depth=2
	s_wait_xcnt 0x0
	v_add_nc_u64_e32 v[10:11], s[28:29], v[4:5]
	s_add_nc_u64 s[42:43], s[24:25], s[22:23]
	v_add_nc_u64_e32 v[18:19], s[28:29], v[2:3]
	s_add_co_i32 s7, s7, -1
	s_add_nc_u64 s[28:29], s[28:29], s[18:19]
	s_clause 0x1
	global_load_b32 v12, v9, s[24:25] offset:16
	global_load_b32 v14, v9, s[42:43]
	global_load_b64 v[16:17], v[10:11], off
	s_cmp_eq_u32 s7, 0
	s_wait_xcnt 0x2
	s_add_nc_u64 s[24:25], s[24:25], s[26:27]
	s_wait_loadcnt 0x0
	s_wait_xcnt 0x0
	v_pk_mul_f32 v[10:11], v[16:17], v[14:15] op_sel_hi:[1,0]
	v_pk_mul_f32 v[14:15], v[0:1], v[14:15] op_sel_hi:[1,0]
	s_delay_alu instid0(VALU_DEP_2) | instskip(NEXT) | instid1(VALU_DEP_2)
	v_pk_fma_f32 v[10:11], v[0:1], v[12:13], v[10:11] op_sel_hi:[1,0,1] neg_lo:[0,0,1] neg_hi:[0,0,1]
	v_pk_fma_f32 v[0:1], v[16:17], v[12:13], v[14:15] op_sel_hi:[1,0,1]
	global_store_b64 v[18:19], v[10:11], off
	s_cbranch_scc0 .LBB32_16
; %bb.17:                               ;   in Loop: Header=BB32_12 Depth=1
	v_sub_nc_u64_e64 v[2:3], v[4:5], s[18:19]
	s_delay_alu instid0(VALU_DEP_1)
	v_add_nc_u64_e32 v[2:3], s[28:29], v[2:3]
	global_store_b64 v[2:3], v[0:1], off
.LBB32_18:                              ;   in Loop: Header=BB32_12 Depth=1
	s_wait_xcnt 0x0
	s_or_b32 exec_lo, exec_lo, s13
	s_lshl_b32 s7, s12, 1
	s_delay_alu instid0(SALU_CYCLE_1)
	s_add_co_i32 s7, s7, 2
	s_and_b32 s9, s35, exec_lo
	s_cselect_b32 s7, 0, s7
	s_and_saveexec_b32 s9, s37
	s_cbranch_execz .LBB32_22
; %bb.19:                               ;   in Loop: Header=BB32_12 Depth=1
	s_and_b32 s13, s40, exec_lo
	s_cselect_b32 s13, s6, s8
	s_add_co_i32 s18, s12, -1
	s_mul_i32 s26, s13, s5
	s_and_b32 s19, s40, exec_lo
	v_dual_mov_b32 v3, v6 :: v_dual_add_nc_u32 v0, s26, v6
	s_cselect_b32 s18, 0, s18
	s_add_co_i32 s19, s39, s13
	s_add_co_i32 s18, s7, s18
	global_load_b64 v[0:1], v0, s[2:3] scale_offset
	s_ashr_i32 s13, s12, 31
	s_mul_i32 s27, s5, s19
	s_ashr_i32 s19, s18, 31
	s_lshl_b64 s[22:23], s[12:13], 2
	s_lshl_b64 s[24:25], s[14:15], 2
	;; [unrolled: 1-line block ×3, first 2 shown]
	s_add_nc_u64 s[18:19], s[22:23], 20
	s_add_nc_u64 s[22:23], s[24:25], s[42:43]
	s_ashr_i32 s25, s39, 31
	s_mov_b32 s24, s39
	s_mul_i32 s28, s5, s39
	s_add_nc_u64 s[22:23], s[10:11], s[22:23]
	s_lshl_b64 s[24:25], s[24:25], 2
	s_mov_b32 s13, s12
.LBB32_20:                              ;   Parent Loop BB32_12 Depth=1
                                        ; =>  This Inner Loop Header: Depth=2
	s_wait_xcnt 0x0
	v_dual_add_nc_u32 v2, s27, v3 :: v_dual_add_nc_u32 v5, s26, v3
	s_add_nc_u64 s[42:43], s[22:23], s[18:19]
	s_clause 0x1
	global_load_b32 v4, v9, s[22:23] offset:16
	global_load_b32 v10, v9, s[42:43]
	global_load_b64 v[12:13], v2, s[2:3] scale_offset
	v_add_nc_u32_e32 v3, s28, v3
	s_add_co_i32 s13, s13, -1
	s_wait_xcnt 0x2
	s_add_nc_u64 s[22:23], s[22:23], s[24:25]
	s_cmp_eq_u32 s13, 0
	s_wait_loadcnt 0x0
	v_pk_mul_f32 v[14:15], v[12:13], v[10:11] op_sel_hi:[1,0]
	v_pk_mul_f32 v[10:11], v[0:1], v[10:11] op_sel_hi:[1,0]
	s_delay_alu instid0(VALU_DEP_2) | instskip(NEXT) | instid1(VALU_DEP_2)
	v_pk_fma_f32 v[14:15], v[0:1], v[4:5], v[14:15] op_sel_hi:[1,0,1] neg_lo:[0,0,1] neg_hi:[0,0,1]
	v_pk_fma_f32 v[0:1], v[12:13], v[4:5], v[10:11] op_sel_hi:[1,0,1]
	global_store_b64 v5, v[14:15], s[2:3] scale_offset
	s_cbranch_scc0 .LBB32_20
; %bb.21:                               ;   in Loop: Header=BB32_12 Depth=1
	v_ashrrev_i32_e32 v3, 31, v2
	s_wait_xcnt 0x1
	s_delay_alu instid0(VALU_DEP_1)
	v_lshl_add_u64 v[2:3], v[2:3], 3, s[2:3]
	global_store_b64 v[2:3], v[0:1], off
.LBB32_22:                              ;   in Loop: Header=BB32_12 Depth=1
	s_wait_xcnt 0x0
	s_or_b32 exec_lo, exec_lo, s9
	s_and_saveexec_b32 s9, s38
	s_cbranch_execz .LBB32_10
; %bb.23:                               ;   in Loop: Header=BB32_12 Depth=1
	s_lshl_b64 s[14:15], s[14:15], 2
	s_and_b32 s13, s40, exec_lo
	s_cselect_b32 s13, s6, s8
	s_mov_b32 s22, s39
	v_add_nc_u32_e32 v2, s13, v8
	v_add3_u32 v4, s13, s39, v8
	s_add_co_i32 s13, s12, -1
	s_and_b32 s18, s40, exec_lo
	s_cselect_b32 s13, 0, s13
	global_load_b64 v[0:1], v2, s[16:17] scale_offset
	v_dual_ashrrev_i32 v3, 31, v2 :: v_dual_ashrrev_i32 v5, 31, v4
	s_add_co_i32 s18, s7, s13
	s_ashr_i32 s23, s39, 31
	s_ashr_i32 s13, s12, 31
	s_wait_xcnt 0x0
	v_lshlrev_b64_e32 v[2:3], 3, v[2:3]
	v_lshlrev_b64_e32 v[4:5], 3, v[4:5]
	s_add_nc_u64 s[14:15], s[10:11], s[14:15]
	s_lshl_b64 s[22:23], s[22:23], 3
	s_lshl_b64 s[24:25], s[12:13], 2
	s_mov_b64 s[12:13], s[16:17]
.LBB32_24:                              ;   Parent Loop BB32_12 Depth=1
                                        ; =>  This Inner Loop Header: Depth=2
	s_ashr_i32 s19, s18, 31
	s_wait_xcnt 0x0
	v_add_nc_u64_e32 v[10:11], s[12:13], v[4:5]
	s_lshl_b64 s[26:27], s[18:19], 2
	v_mov_b32_e32 v15, s18
	s_add_nc_u64 s[26:27], s[14:15], s[26:27]
	v_add_nc_u64_e32 v[18:19], s[12:13], v[2:3]
	s_add_nc_u64 s[26:27], s[26:27], s[24:25]
	global_load_b64 v[12:13], v[10:11], off
	s_clause 0x1
	global_load_b32 v14, v9, s[26:27] offset:20
	global_load_b32 v16, v15, s[14:15] offset:16 scale_offset
	s_add_co_i32 s6, s6, 1
	s_add_co_i32 s18, s18, s39
	s_cmp_eq_u32 s6, s8
	s_add_nc_u64 s[12:13], s[12:13], s[22:23]
	s_wait_loadcnt 0x1
	s_wait_xcnt 0x2
	v_pk_mul_f32 v[10:11], v[12:13], v[14:15] op_sel_hi:[1,0]
	s_wait_xcnt 0x0
	v_pk_mul_f32 v[14:15], v[0:1], v[14:15] op_sel_hi:[1,0]
	s_wait_loadcnt 0x0
	s_delay_alu instid0(VALU_DEP_2) | instskip(NEXT) | instid1(VALU_DEP_2)
	v_pk_fma_f32 v[10:11], v[0:1], v[16:17], v[10:11] op_sel_hi:[1,0,1] neg_lo:[0,0,1] neg_hi:[0,0,1]
	v_pk_fma_f32 v[0:1], v[12:13], v[16:17], v[14:15] op_sel_hi:[1,0,1]
	global_store_b64 v[18:19], v[10:11], off
	s_cbranch_scc0 .LBB32_24
	s_branch .LBB32_9
.LBB32_25:
	s_endpgm
	.section	.rodata,"a",@progbits
	.p2align	6, 0x0
	.amdhsa_kernel _ZN9rocsolver6v33100L12bdsqr_rotateI19rocblas_complex_numIfEfPS3_S4_S4_EEviiiiT1_iilT2_iilT3_iiliPiPT0_ilS8_
		.amdhsa_group_segment_fixed_size 0
		.amdhsa_private_segment_fixed_size 0
		.amdhsa_kernarg_size 392
		.amdhsa_user_sgpr_count 2
		.amdhsa_user_sgpr_dispatch_ptr 0
		.amdhsa_user_sgpr_queue_ptr 0
		.amdhsa_user_sgpr_kernarg_segment_ptr 1
		.amdhsa_user_sgpr_dispatch_id 0
		.amdhsa_user_sgpr_kernarg_preload_length 0
		.amdhsa_user_sgpr_kernarg_preload_offset 0
		.amdhsa_user_sgpr_private_segment_size 0
		.amdhsa_wavefront_size32 1
		.amdhsa_uses_dynamic_stack 0
		.amdhsa_enable_private_segment 0
		.amdhsa_system_sgpr_workgroup_id_x 1
		.amdhsa_system_sgpr_workgroup_id_y 1
		.amdhsa_system_sgpr_workgroup_id_z 1
		.amdhsa_system_sgpr_workgroup_info 0
		.amdhsa_system_vgpr_workitem_id 0
		.amdhsa_next_free_vgpr 20
		.amdhsa_next_free_sgpr 44
		.amdhsa_named_barrier_count 0
		.amdhsa_reserve_vcc 1
		.amdhsa_float_round_mode_32 0
		.amdhsa_float_round_mode_16_64 0
		.amdhsa_float_denorm_mode_32 3
		.amdhsa_float_denorm_mode_16_64 3
		.amdhsa_fp16_overflow 0
		.amdhsa_memory_ordered 1
		.amdhsa_forward_progress 1
		.amdhsa_inst_pref_size 14
		.amdhsa_round_robin_scheduling 0
		.amdhsa_exception_fp_ieee_invalid_op 0
		.amdhsa_exception_fp_denorm_src 0
		.amdhsa_exception_fp_ieee_div_zero 0
		.amdhsa_exception_fp_ieee_overflow 0
		.amdhsa_exception_fp_ieee_underflow 0
		.amdhsa_exception_fp_ieee_inexact 0
		.amdhsa_exception_int_div_zero 0
	.end_amdhsa_kernel
	.section	.text._ZN9rocsolver6v33100L12bdsqr_rotateI19rocblas_complex_numIfEfPS3_S4_S4_EEviiiiT1_iilT2_iilT3_iiliPiPT0_ilS8_,"axG",@progbits,_ZN9rocsolver6v33100L12bdsqr_rotateI19rocblas_complex_numIfEfPS3_S4_S4_EEviiiiT1_iilT2_iilT3_iiliPiPT0_ilS8_,comdat
.Lfunc_end32:
	.size	_ZN9rocsolver6v33100L12bdsqr_rotateI19rocblas_complex_numIfEfPS3_S4_S4_EEviiiiT1_iilT2_iilT3_iiliPiPT0_ilS8_, .Lfunc_end32-_ZN9rocsolver6v33100L12bdsqr_rotateI19rocblas_complex_numIfEfPS3_S4_S4_EEviiiiT1_iilT2_iilT3_iiliPiPT0_ilS8_
                                        ; -- End function
	.set _ZN9rocsolver6v33100L12bdsqr_rotateI19rocblas_complex_numIfEfPS3_S4_S4_EEviiiiT1_iilT2_iilT3_iiliPiPT0_ilS8_.num_vgpr, 20
	.set _ZN9rocsolver6v33100L12bdsqr_rotateI19rocblas_complex_numIfEfPS3_S4_S4_EEviiiiT1_iilT2_iilT3_iiliPiPT0_ilS8_.num_agpr, 0
	.set _ZN9rocsolver6v33100L12bdsqr_rotateI19rocblas_complex_numIfEfPS3_S4_S4_EEviiiiT1_iilT2_iilT3_iiliPiPT0_ilS8_.numbered_sgpr, 44
	.set _ZN9rocsolver6v33100L12bdsqr_rotateI19rocblas_complex_numIfEfPS3_S4_S4_EEviiiiT1_iilT2_iilT3_iiliPiPT0_ilS8_.num_named_barrier, 0
	.set _ZN9rocsolver6v33100L12bdsqr_rotateI19rocblas_complex_numIfEfPS3_S4_S4_EEviiiiT1_iilT2_iilT3_iiliPiPT0_ilS8_.private_seg_size, 0
	.set _ZN9rocsolver6v33100L12bdsqr_rotateI19rocblas_complex_numIfEfPS3_S4_S4_EEviiiiT1_iilT2_iilT3_iiliPiPT0_ilS8_.uses_vcc, 1
	.set _ZN9rocsolver6v33100L12bdsqr_rotateI19rocblas_complex_numIfEfPS3_S4_S4_EEviiiiT1_iilT2_iilT3_iiliPiPT0_ilS8_.uses_flat_scratch, 0
	.set _ZN9rocsolver6v33100L12bdsqr_rotateI19rocblas_complex_numIfEfPS3_S4_S4_EEviiiiT1_iilT2_iilT3_iiliPiPT0_ilS8_.has_dyn_sized_stack, 0
	.set _ZN9rocsolver6v33100L12bdsqr_rotateI19rocblas_complex_numIfEfPS3_S4_S4_EEviiiiT1_iilT2_iilT3_iiliPiPT0_ilS8_.has_recursion, 0
	.set _ZN9rocsolver6v33100L12bdsqr_rotateI19rocblas_complex_numIfEfPS3_S4_S4_EEviiiiT1_iilT2_iilT3_iiliPiPT0_ilS8_.has_indirect_call, 0
	.section	.AMDGPU.csdata,"",@progbits
; Kernel info:
; codeLenInByte = 1676
; TotalNumSgprs: 46
; NumVgprs: 20
; ScratchSize: 0
; MemoryBound: 0
; FloatMode: 240
; IeeeMode: 1
; LDSByteSize: 0 bytes/workgroup (compile time only)
; SGPRBlocks: 0
; VGPRBlocks: 1
; NumSGPRsForWavesPerEU: 46
; NumVGPRsForWavesPerEU: 20
; NamedBarCnt: 0
; Occupancy: 16
; WaveLimiterHint : 1
; COMPUTE_PGM_RSRC2:SCRATCH_EN: 0
; COMPUTE_PGM_RSRC2:USER_SGPR: 2
; COMPUTE_PGM_RSRC2:TRAP_HANDLER: 0
; COMPUTE_PGM_RSRC2:TGID_X_EN: 1
; COMPUTE_PGM_RSRC2:TGID_Y_EN: 1
; COMPUTE_PGM_RSRC2:TGID_Z_EN: 1
; COMPUTE_PGM_RSRC2:TIDIG_COMP_CNT: 0
	.section	.text._ZN9rocsolver6v33100L22bdsqr_update_endpointsI19rocblas_complex_numIfEfEEviPT0_lPiS5_lS6_,"axG",@progbits,_ZN9rocsolver6v33100L22bdsqr_update_endpointsI19rocblas_complex_numIfEfEEviPT0_lPiS5_lS6_,comdat
	.globl	_ZN9rocsolver6v33100L22bdsqr_update_endpointsI19rocblas_complex_numIfEfEEviPT0_lPiS5_lS6_ ; -- Begin function _ZN9rocsolver6v33100L22bdsqr_update_endpointsI19rocblas_complex_numIfEfEEviPT0_lPiS5_lS6_
	.p2align	8
	.type	_ZN9rocsolver6v33100L22bdsqr_update_endpointsI19rocblas_complex_numIfEfEEviPT0_lPiS5_lS6_,@function
_ZN9rocsolver6v33100L22bdsqr_update_endpointsI19rocblas_complex_numIfEfEEviPT0_lPiS5_lS6_: ; @_ZN9rocsolver6v33100L22bdsqr_update_endpointsI19rocblas_complex_numIfEfEEviPT0_lPiS5_lS6_
; %bb.0:
	s_load_b128 s[12:15], s[0:1], 0x28
	s_bfe_u32 s2, ttmp6, 0x40014
	s_lshr_b32 s3, ttmp7, 16
	s_add_co_i32 s2, s2, 1
	s_bfe_u32 s5, ttmp6, 0x40008
	s_mul_i32 s4, s3, s2
	s_getreg_b32 s2, hwreg(HW_REG_IB_STS2, 6, 4)
	s_add_co_i32 s5, s5, s4
	s_cmp_eq_u32 s2, 0
	s_mov_b32 s17, 0
	s_cselect_b32 s16, s3, s5
	s_wait_kmcnt 0x0
	s_load_b32 s3, s[14:15], s16 offset:0x8 scale_offset
	s_wait_kmcnt 0x0
	s_cmp_lg_u32 s3, 0
	s_cbranch_scc1 .LBB33_28
; %bb.1:
	s_load_b256 s[4:11], s[0:1], 0x8
	s_bfe_u32 s3, ttmp6, 0x40010
	s_and_b32 s14, ttmp7, 0xffff
	s_add_co_i32 s3, s3, 1
	s_bfe_u32 s15, ttmp6, 0x40004
	s_mul_i32 s3, s14, s3
	s_delay_alu instid0(SALU_CYCLE_1)
	s_add_co_i32 s15, s15, s3
	s_cmp_eq_u32 s2, 0
	s_mul_u64 s[2:3], s[12:13], s[16:17]
	s_cselect_b32 s20, s14, s15
	s_lshl_b64 s[2:3], s[2:3], 2
	s_wait_kmcnt 0x0
	s_add_nc_u64 s[2:3], s[10:11], s[2:3]
	s_load_b64 s[10:11], s[2:3], 0x4
	s_wait_kmcnt 0x0
	s_cvt_i32_f32 s11, s11
	s_delay_alu instid0(SALU_CYCLE_3)
	s_cmp_ge_i32 s20, s11
	s_cbranch_scc1 .LBB33_28
; %bb.2:
	s_clause 0x1
	s_load_b32 s12, s[0:1], 0x0
	s_load_b32 s21, s[0:1], 0x3c
	s_wait_xcnt 0x0
	s_mul_u64 s[0:1], s[6:7], s[16:17]
	v_mov_b32_e32 v4, 0
	s_lshl_b64 s[0:1], s[0:1], 2
	s_cvt_f32_i32 s22, s11
	s_add_nc_u64 s[4:5], s[4:5], s[0:1]
	s_wait_kmcnt 0x0
	s_mul_i32 s6, s16, s12
	s_delay_alu instid0(SALU_CYCLE_1) | instskip(NEXT) | instid1(SALU_CYCLE_1)
	s_lshl_b32 s6, s6, 1
	s_ashr_i32 s7, s6, 31
	s_delay_alu instid0(SALU_CYCLE_1) | instskip(NEXT) | instid1(SALU_CYCLE_1)
	s_lshl_b64 s[6:7], s[6:7], 2
	s_add_nc_u64 s[6:7], s[8:9], s[6:7]
	s_add_nc_u64 s[8:9], s[4:5], -4
	s_branch .LBB33_4
.LBB33_3:                               ;   in Loop: Header=BB33_4 Depth=1
	s_wait_xcnt 0x0
	v_dual_mov_b32 v0, s23 :: v_dual_mov_b32 v1, s15
	s_add_co_i32 s20, s21, s20
	s_delay_alu instid0(SALU_CYCLE_1)
	s_cmp_lt_i32 s20, s11
	global_store_b64 v4, v[0:1], s[12:13] offset:4
	s_cbranch_scc0 .LBB33_28
.LBB33_4:                               ; =>This Loop Header: Depth=1
                                        ;     Child Loop BB33_9 Depth 2
                                        ;     Child Loop BB33_14 Depth 2
	;; [unrolled: 1-line block ×3, first 2 shown]
	s_lshl_b32 s0, s20, 2
	s_delay_alu instid0(SALU_CYCLE_1) | instskip(NEXT) | instid1(SALU_CYCLE_1)
	s_ashr_i32 s1, s0, 31
	s_lshl_b64 s[0:1], s[0:1], 2
	s_wait_xcnt 0x0
	s_add_nc_u64 s[12:13], s[6:7], s[0:1]
	global_load_b128 v[0:3], v4, s[12:13]
	s_wait_loadcnt 0x0
	v_cmp_eq_u32_e64 s0, 0, v0
	v_readfirstlane_b32 s16, v1
	v_readfirstlane_b32 s14, v2
	v_mov_b32_e32 v2, v3
	s_and_b32 vcc_lo, exec_lo, s0
	s_cbranch_vccnz .LBB33_6
; %bb.5:                                ;   in Loop: Header=BB33_4 Depth=1
	s_sub_co_i32 s1, s14, s16
	s_delay_alu instid0(SALU_CYCLE_1)
	v_add_nc_u32_e32 v2, s1, v3
	global_store_b32 v4, v2, s[12:13] offset:12
.LBB33_6:                               ;   in Loop: Header=BB33_4 Depth=1
	s_cmp_le_i32 s14, s16
	s_cbranch_scc1 .LBB33_16
; %bb.7:                                ;   in Loop: Header=BB33_4 Depth=1
	s_ashr_i32 s17, s16, 31
	s_delay_alu instid0(SALU_CYCLE_1) | instskip(NEXT) | instid1(SALU_CYCLE_1)
	s_lshl_b64 s[18:19], s[16:17], 2
	s_add_nc_u64 s[18:19], s[4:5], s[18:19]
	s_branch .LBB33_9
.LBB33_8:                               ;   in Loop: Header=BB33_9 Depth=2
	s_add_co_i32 s16, s16, 1
	global_store_b32 v4, v4, s[18:19]
	s_cmp_ge_i32 s16, s14
	s_wait_xcnt 0x0
	s_add_nc_u64 s[18:19], s[18:19], 4
	s_cselect_b32 s1, -1, 0
	s_mov_b32 s23, s14
	s_and_not1_b32 vcc_lo, exec_lo, s1
	s_cbranch_vccz .LBB33_11
.LBB33_9:                               ;   Parent Loop BB33_4 Depth=1
                                        ; =>  This Inner Loop Header: Depth=2
	global_load_b32 v0, v4, s[18:19]
	s_mov_b32 s1, -1
	s_wait_loadcnt 0x0
	v_and_b32_e32 v0, 0x7fffffff, v0
	s_delay_alu instid0(VALU_DEP_1)
	v_cmp_ngt_f32_e32 vcc_lo, s10, v0
	s_cbranch_vccz .LBB33_8
; %bb.10:                               ;   in Loop: Header=BB33_9 Depth=2
	s_mov_b32 s23, s16
                                        ; implicit-def: $sgpr16
                                        ; implicit-def: $sgpr18_sgpr19
	s_and_not1_b32 vcc_lo, exec_lo, s1
	s_cbranch_vccnz .LBB33_9
.LBB33_11:                              ;   in Loop: Header=BB33_4 Depth=1
	s_cmp_le_i32 s14, s23
	s_cbranch_scc1 .LBB33_17
.LBB33_12:                              ;   in Loop: Header=BB33_4 Depth=1
	s_ashr_i32 s15, s14, 31
	s_delay_alu instid0(SALU_CYCLE_1) | instskip(NEXT) | instid1(SALU_CYCLE_1)
	s_lshl_b64 s[16:17], s[14:15], 2
	s_add_nc_u64 s[16:17], s[8:9], s[16:17]
	s_branch .LBB33_14
.LBB33_13:                              ;   in Loop: Header=BB33_14 Depth=2
	s_add_co_i32 s14, s14, -1
	global_store_b32 v4, v4, s[16:17]
	s_cmp_le_i32 s14, s23
	s_wait_xcnt 0x0
	s_add_nc_u64 s[16:17], s[16:17], -4
	s_cselect_b32 s1, -1, 0
	s_mov_b32 s15, s23
	s_and_not1_b32 vcc_lo, exec_lo, s1
	s_cbranch_vccz .LBB33_18
.LBB33_14:                              ;   Parent Loop BB33_4 Depth=1
                                        ; =>  This Inner Loop Header: Depth=2
	global_load_b32 v0, v4, s[16:17]
	s_mov_b32 s1, -1
	s_wait_loadcnt 0x0
	v_and_b32_e32 v0, 0x7fffffff, v0
	s_delay_alu instid0(VALU_DEP_1)
	v_cmp_ngt_f32_e32 vcc_lo, s10, v0
	s_cbranch_vccz .LBB33_13
; %bb.15:                               ;   in Loop: Header=BB33_14 Depth=2
	s_mov_b32 s15, s14
                                        ; implicit-def: $sgpr14
                                        ; implicit-def: $sgpr16_sgpr17
	s_and_not1_b32 vcc_lo, exec_lo, s1
	s_cbranch_vccnz .LBB33_14
	s_branch .LBB33_18
.LBB33_16:                              ;   in Loop: Header=BB33_4 Depth=1
	s_mov_b32 s23, s16
	s_delay_alu instid0(SALU_CYCLE_1)
	s_cmp_le_i32 s14, s23
	s_cbranch_scc0 .LBB33_12
.LBB33_17:                              ;   in Loop: Header=BB33_4 Depth=1
	s_mov_b32 s15, s14
.LBB33_18:                              ;   in Loop: Header=BB33_4 Depth=1
	s_delay_alu instid0(SALU_CYCLE_1) | instskip(SKIP_1) | instid1(SALU_CYCLE_1)
	s_cmp_lt_i32 s23, s15
	s_cselect_b32 s1, -1, 0
	s_and_b32 s0, s0, s1
	s_delay_alu instid0(SALU_CYCLE_1)
	s_and_not1_b32 vcc_lo, exec_lo, s0
	s_mov_b32 s0, s23
	s_cbranch_vccz .LBB33_20
	s_branch .LBB33_3
.LBB33_19:                              ;   in Loop: Header=BB33_20 Depth=2
	s_mov_b32 s0, s1
	s_delay_alu instid0(SALU_CYCLE_1)
	s_cmp_lt_i32 s0, s15
	s_cbranch_scc0 .LBB33_3
.LBB33_20:                              ;   Parent Loop BB33_4 Depth=1
                                        ; =>  This Inner Loop Header: Depth=2
	s_wait_xcnt 0x0
	v_mov_b32_e32 v0, s0
	s_mov_b32 s14, -1
                                        ; implicit-def: $sgpr1
	global_load_b32 v0, v0, s[4:5] scale_offset
	s_wait_loadcnt 0x0
	s_wait_xcnt 0x0
	v_and_b32_e32 v0, 0x7fffffff, v0
	s_delay_alu instid0(VALU_DEP_1)
	v_cmp_gt_f32_e32 vcc_lo, s10, v0
	s_cbranch_vccnz .LBB33_22
; %bb.21:                               ;   in Loop: Header=BB33_20 Depth=2
	s_add_co_i32 s1, s0, 1
	s_mov_b32 s14, 0
.LBB33_22:                              ;   in Loop: Header=BB33_20 Depth=2
	s_delay_alu instid0(SALU_CYCLE_1)
	s_and_not1_b32 vcc_lo, exec_lo, s14
	s_cbranch_vccnz .LBB33_19
; %bb.23:                               ;   in Loop: Header=BB33_20 Depth=2
	s_ashr_i32 s1, s0, 31
	s_delay_alu instid0(SALU_CYCLE_1)
	s_lshl_b64 s[16:17], s[0:1], 2
	s_cmp_ge_i32 s23, s0
	s_add_nc_u64 s[16:17], s[4:5], s[16:17]
	global_store_b32 v4, v4, s[16:17]
	s_cbranch_scc1 .LBB33_27
; %bb.24:                               ;   in Loop: Header=BB33_20 Depth=2
	s_mov_b32 s14, exec_lo
                                        ; implicit-def: $vgpr1
	s_delay_alu instid0(SALU_CYCLE_1) | instskip(NEXT) | instid1(VALU_DEP_1)
	v_mbcnt_lo_u32_b32 v0, s14, 0
	v_cmp_eq_u32_e32 vcc_lo, 0, v0
	s_wait_xcnt 0x0
	s_and_saveexec_b32 s1, vcc_lo
	s_cbranch_execz .LBB33_26
; %bb.25:                               ;   in Loop: Header=BB33_20 Depth=2
	s_bcnt1_i32_b32 s14, s14
	s_delay_alu instid0(SALU_CYCLE_1)
	v_cvt_f32_ubyte0_e32 v1, s14
	global_atomic_add_f32 v1, v4, v1, s[2:3] offset:12 th:TH_ATOMIC_RETURN scope:SCOPE_DEV
.LBB33_26:                              ;   in Loop: Header=BB33_20 Depth=2
	s_wait_xcnt 0x0
	s_or_b32 exec_lo, exec_lo, s1
	s_wait_loadcnt 0x0
	v_readfirstlane_b32 s1, v1
	v_cvt_f32_ubyte0_e32 v0, v0
	s_delay_alu instid0(VALU_DEP_1) | instskip(NEXT) | instid1(VALU_DEP_1)
	v_dual_mov_b32 v1, s0 :: v_dual_add_f32 v0, s1, v0
	v_cndmask_b32_e64 v0, v0, s1, vcc_lo
	s_delay_alu instid0(VALU_DEP_1) | instskip(NEXT) | instid1(VALU_DEP_1)
	v_add_f32_e32 v0, s22, v0
	v_cvt_i32_f32_e32 v0, v0
	s_delay_alu instid0(VALU_DEP_1) | instskip(NEXT) | instid1(VALU_DEP_1)
	v_dual_lshlrev_b32 v6, 2, v0 :: v_dual_mov_b32 v0, s23
	v_ashrrev_i32_e32 v7, 31, v6
	s_delay_alu instid0(VALU_DEP_1)
	v_lshl_add_u64 v[6:7], v[6:7], 2, s[6:7]
	global_store_b96 v[6:7], v[0:2], off offset:4
.LBB33_27:                              ;   in Loop: Header=BB33_20 Depth=2
	s_add_co_i32 s0, s0, 1
	s_delay_alu instid0(SALU_CYCLE_1)
	s_mov_b32 s23, s0
	s_cmp_lt_i32 s0, s15
	s_cbranch_scc1 .LBB33_20
	s_branch .LBB33_3
.LBB33_28:
	s_endpgm
	.section	.rodata,"a",@progbits
	.p2align	6, 0x0
	.amdhsa_kernel _ZN9rocsolver6v33100L22bdsqr_update_endpointsI19rocblas_complex_numIfEfEEviPT0_lPiS5_lS6_
		.amdhsa_group_segment_fixed_size 0
		.amdhsa_private_segment_fixed_size 0
		.amdhsa_kernarg_size 312
		.amdhsa_user_sgpr_count 2
		.amdhsa_user_sgpr_dispatch_ptr 0
		.amdhsa_user_sgpr_queue_ptr 0
		.amdhsa_user_sgpr_kernarg_segment_ptr 1
		.amdhsa_user_sgpr_dispatch_id 0
		.amdhsa_user_sgpr_kernarg_preload_length 0
		.amdhsa_user_sgpr_kernarg_preload_offset 0
		.amdhsa_user_sgpr_private_segment_size 0
		.amdhsa_wavefront_size32 1
		.amdhsa_uses_dynamic_stack 0
		.amdhsa_enable_private_segment 0
		.amdhsa_system_sgpr_workgroup_id_x 1
		.amdhsa_system_sgpr_workgroup_id_y 1
		.amdhsa_system_sgpr_workgroup_id_z 1
		.amdhsa_system_sgpr_workgroup_info 0
		.amdhsa_system_vgpr_workitem_id 0
		.amdhsa_next_free_vgpr 8
		.amdhsa_next_free_sgpr 24
		.amdhsa_named_barrier_count 0
		.amdhsa_reserve_vcc 1
		.amdhsa_float_round_mode_32 0
		.amdhsa_float_round_mode_16_64 0
		.amdhsa_float_denorm_mode_32 3
		.amdhsa_float_denorm_mode_16_64 3
		.amdhsa_fp16_overflow 0
		.amdhsa_memory_ordered 1
		.amdhsa_forward_progress 1
		.amdhsa_inst_pref_size 8
		.amdhsa_round_robin_scheduling 0
		.amdhsa_exception_fp_ieee_invalid_op 0
		.amdhsa_exception_fp_denorm_src 0
		.amdhsa_exception_fp_ieee_div_zero 0
		.amdhsa_exception_fp_ieee_overflow 0
		.amdhsa_exception_fp_ieee_underflow 0
		.amdhsa_exception_fp_ieee_inexact 0
		.amdhsa_exception_int_div_zero 0
	.end_amdhsa_kernel
	.section	.text._ZN9rocsolver6v33100L22bdsqr_update_endpointsI19rocblas_complex_numIfEfEEviPT0_lPiS5_lS6_,"axG",@progbits,_ZN9rocsolver6v33100L22bdsqr_update_endpointsI19rocblas_complex_numIfEfEEviPT0_lPiS5_lS6_,comdat
.Lfunc_end33:
	.size	_ZN9rocsolver6v33100L22bdsqr_update_endpointsI19rocblas_complex_numIfEfEEviPT0_lPiS5_lS6_, .Lfunc_end33-_ZN9rocsolver6v33100L22bdsqr_update_endpointsI19rocblas_complex_numIfEfEEviPT0_lPiS5_lS6_
                                        ; -- End function
	.set _ZN9rocsolver6v33100L22bdsqr_update_endpointsI19rocblas_complex_numIfEfEEviPT0_lPiS5_lS6_.num_vgpr, 8
	.set _ZN9rocsolver6v33100L22bdsqr_update_endpointsI19rocblas_complex_numIfEfEEviPT0_lPiS5_lS6_.num_agpr, 0
	.set _ZN9rocsolver6v33100L22bdsqr_update_endpointsI19rocblas_complex_numIfEfEEviPT0_lPiS5_lS6_.numbered_sgpr, 24
	.set _ZN9rocsolver6v33100L22bdsqr_update_endpointsI19rocblas_complex_numIfEfEEviPT0_lPiS5_lS6_.num_named_barrier, 0
	.set _ZN9rocsolver6v33100L22bdsqr_update_endpointsI19rocblas_complex_numIfEfEEviPT0_lPiS5_lS6_.private_seg_size, 0
	.set _ZN9rocsolver6v33100L22bdsqr_update_endpointsI19rocblas_complex_numIfEfEEviPT0_lPiS5_lS6_.uses_vcc, 1
	.set _ZN9rocsolver6v33100L22bdsqr_update_endpointsI19rocblas_complex_numIfEfEEviPT0_lPiS5_lS6_.uses_flat_scratch, 0
	.set _ZN9rocsolver6v33100L22bdsqr_update_endpointsI19rocblas_complex_numIfEfEEviPT0_lPiS5_lS6_.has_dyn_sized_stack, 0
	.set _ZN9rocsolver6v33100L22bdsqr_update_endpointsI19rocblas_complex_numIfEfEEviPT0_lPiS5_lS6_.has_recursion, 0
	.set _ZN9rocsolver6v33100L22bdsqr_update_endpointsI19rocblas_complex_numIfEfEEviPT0_lPiS5_lS6_.has_indirect_call, 0
	.section	.AMDGPU.csdata,"",@progbits
; Kernel info:
; codeLenInByte = 1008
; TotalNumSgprs: 26
; NumVgprs: 8
; ScratchSize: 0
; MemoryBound: 0
; FloatMode: 240
; IeeeMode: 1
; LDSByteSize: 0 bytes/workgroup (compile time only)
; SGPRBlocks: 0
; VGPRBlocks: 0
; NumSGPRsForWavesPerEU: 26
; NumVGPRsForWavesPerEU: 8
; NamedBarCnt: 0
; Occupancy: 16
; WaveLimiterHint : 1
; COMPUTE_PGM_RSRC2:SCRATCH_EN: 0
; COMPUTE_PGM_RSRC2:USER_SGPR: 2
; COMPUTE_PGM_RSRC2:TRAP_HANDLER: 0
; COMPUTE_PGM_RSRC2:TGID_X_EN: 1
; COMPUTE_PGM_RSRC2:TGID_Y_EN: 1
; COMPUTE_PGM_RSRC2:TGID_Z_EN: 1
; COMPUTE_PGM_RSRC2:TIDIG_COMP_CNT: 0
	.section	.text._ZN9rocsolver6v33100L19bdsqr_chk_completedI19rocblas_complex_numIfEfEEviiPiPT0_lS4_,"axG",@progbits,_ZN9rocsolver6v33100L19bdsqr_chk_completedI19rocblas_complex_numIfEfEEviiPiPT0_lS4_,comdat
	.globl	_ZN9rocsolver6v33100L19bdsqr_chk_completedI19rocblas_complex_numIfEfEEviiPiPT0_lS4_ ; -- Begin function _ZN9rocsolver6v33100L19bdsqr_chk_completedI19rocblas_complex_numIfEfEEviiPiPT0_lS4_
	.p2align	8
	.type	_ZN9rocsolver6v33100L19bdsqr_chk_completedI19rocblas_complex_numIfEfEEviiPiPT0_lS4_,@function
_ZN9rocsolver6v33100L19bdsqr_chk_completedI19rocblas_complex_numIfEfEEviiPiPT0_lS4_: ; @_ZN9rocsolver6v33100L19bdsqr_chk_completedI19rocblas_complex_numIfEfEEviiPiPT0_lS4_
; %bb.0:
	s_load_b256 s[4:11], s[0:1], 0x8
	s_bfe_u32 s2, ttmp6, 0x40010
	s_bfe_u32 s3, ttmp6, 0x40004
	s_add_co_i32 s2, s2, 1
	s_getreg_b32 s12, hwreg(HW_REG_IB_STS2, 6, 4)
	s_mul_i32 s2, ttmp7, s2
	s_delay_alu instid0(SALU_CYCLE_1) | instskip(SKIP_2) | instid1(SALU_CYCLE_1)
	s_add_co_i32 s3, s3, s2
	s_cmp_eq_u32 s12, 0
	s_cselect_b32 s12, ttmp7, s3
	s_ashr_i32 s13, s12, 31
	s_delay_alu instid0(SALU_CYCLE_1)
	s_lshl_b64 s[2:3], s[12:13], 2
	s_wait_kmcnt 0x0
	s_add_nc_u64 s[2:3], s[10:11], s[2:3]
	s_load_b32 s14, s[2:3], 0x8
	s_wait_kmcnt 0x0
	s_cmp_lg_u32 s14, 0
	s_cbranch_scc0 .LBB34_2
.LBB34_1:
	s_endpgm
.LBB34_2:
	s_mul_u64 s[8:9], s[8:9], s[12:13]
	s_delay_alu instid0(SALU_CYCLE_1) | instskip(NEXT) | instid1(SALU_CYCLE_1)
	s_lshl_b64 s[8:9], s[8:9], 2
	s_add_nc_u64 s[14:15], s[6:7], s[8:9]
	s_load_b64 s[6:7], s[14:15], 0x8
	s_load_b32 s8, s[10:11], 0x4
	s_wait_kmcnt 0x0
	s_add_f32 s6, s6, s7
	s_delay_alu instid0(SALU_CYCLE_3) | instskip(NEXT) | instid1(SALU_CYCLE_3)
	s_cvt_i32_f32 s6, s6
	s_cvt_f32_i32 s7, s6
	v_mov_b32_e32 v1, 0
	s_cmp_ge_i32 s8, s6
	s_delay_alu instid0(SALU_CYCLE_1)
	v_mov_b32_e32 v0, s7
	s_mov_b32 s7, 0
	global_store_b64 v1, v[0:1], s[14:15] offset:8
	s_cbranch_scc1 .LBB34_6
; %bb.3:
	v_mov_b32_e32 v3, s8
.LBB34_4:                               ; =>This Inner Loop Header: Depth=1
	v_mov_b32_e32 v2, s6
	s_wait_xcnt 0x0
	global_atomic_cmpswap_b32 v3, v1, v[2:3], s[10:11] offset:4 th:TH_ATOMIC_RETURN scope:SCOPE_DEV
	s_wait_loadcnt 0x0
	v_cmp_le_i32_e32 vcc_lo, s6, v3
	s_or_b32 s7, vcc_lo, s7
	s_wait_xcnt 0x0
	s_and_not1_b32 exec_lo, exec_lo, s7
	s_cbranch_execnz .LBB34_4
; %bb.5:
	s_or_b32 exec_lo, exec_lo, s7
.LBB34_6:
	s_cmp_lt_i32 s6, 1
	s_cbranch_scc1 .LBB34_14
; %bb.7:
	s_load_b64 s[0:1], s[0:1], 0x0
	v_mov_b32_e32 v0, 0
	s_wait_kmcnt 0x0
	s_mul_i32 s0, s12, s0
	s_delay_alu instid0(SALU_CYCLE_1) | instskip(NEXT) | instid1(SALU_CYCLE_1)
	s_lshl_b32 s8, s0, 1
	s_ashr_i32 s9, s8, 31
	s_delay_alu instid0(SALU_CYCLE_1) | instskip(NEXT) | instid1(SALU_CYCLE_1)
	s_lshl_b64 s[8:9], s[8:9], 2
	s_add_nc_u64 s[4:5], s[4:5], s[8:9]
	s_delay_alu instid0(SALU_CYCLE_1)
	s_add_nc_u64 s[4:5], s[4:5], 12
	s_branch .LBB34_9
.LBB34_8:                               ;   in Loop: Header=BB34_9 Depth=1
	s_and_not1_b32 vcc_lo, exec_lo, s7
	s_cbranch_vccz .LBB34_13
.LBB34_9:                               ; =>This Inner Loop Header: Depth=1
	global_load_b64 v[2:3], v0, s[4:5] offset:-8
	s_mov_b32 s7, -1
	s_wait_loadcnt 0x0
	v_cmp_ge_i32_e32 vcc_lo, v2, v3
	s_cbranch_vccz .LBB34_11
; %bb.10:                               ;   in Loop: Header=BB34_9 Depth=1
	s_mov_b32 s0, -1
	s_and_not1_b32 vcc_lo, exec_lo, s7
	s_mov_b32 s7, -1
	s_cbranch_vccnz .LBB34_8
	s_branch .LBB34_12
.LBB34_11:                              ;   in Loop: Header=BB34_9 Depth=1
	global_load_b32 v1, v0, s[4:5]
	s_wait_loadcnt 0x0
	v_cmp_le_i32_e64 s7, s1, v1
	s_mov_b32 s0, -1
	s_and_not1_b32 vcc_lo, exec_lo, s7
	s_mov_b32 s7, -1
	s_cbranch_vccnz .LBB34_8
.LBB34_12:                              ;   in Loop: Header=BB34_9 Depth=1
	s_add_co_i32 s6, s6, -1
	s_wait_xcnt 0x0
	s_add_nc_u64 s[4:5], s[4:5], 16
	s_cmp_eq_u32 s6, 0
	s_mov_b32 s0, 0
	s_cselect_b32 s7, -1, 0
	s_branch .LBB34_8
.LBB34_13:
	s_xor_b32 s0, s0, -1
	s_delay_alu instid0(SALU_CYCLE_1)
	s_and_b32 vcc_lo, exec_lo, s0
	s_cbranch_vccz .LBB34_1
	s_branch .LBB34_15
.LBB34_14:
	s_cbranch_execz .LBB34_1
.LBB34_15:
	s_mov_b32 s0, exec_lo
	s_wait_xcnt 0x0
	v_dual_mov_b32 v0, 0 :: v_dual_mov_b32 v2, 1
	v_mbcnt_lo_u32_b32 v1, s0, 0
	s_mov_b32 s1, exec_lo
	global_store_b32 v0, v2, s[2:3] offset:8
	s_wait_xcnt 0x0
	v_cmpx_eq_u32_e32 0, v1
	s_cbranch_execz .LBB34_1
; %bb.16:
	s_bcnt1_i32_b32 s0, s0
	s_delay_alu instid0(SALU_CYCLE_1)
	v_mov_b32_e32 v1, s0
	global_atomic_add_u32 v0, v1, s[10:11] scope:SCOPE_DEV
	s_endpgm
	.section	.rodata,"a",@progbits
	.p2align	6, 0x0
	.amdhsa_kernel _ZN9rocsolver6v33100L19bdsqr_chk_completedI19rocblas_complex_numIfEfEEviiPiPT0_lS4_
		.amdhsa_group_segment_fixed_size 0
		.amdhsa_private_segment_fixed_size 0
		.amdhsa_kernarg_size 40
		.amdhsa_user_sgpr_count 2
		.amdhsa_user_sgpr_dispatch_ptr 0
		.amdhsa_user_sgpr_queue_ptr 0
		.amdhsa_user_sgpr_kernarg_segment_ptr 1
		.amdhsa_user_sgpr_dispatch_id 0
		.amdhsa_user_sgpr_kernarg_preload_length 0
		.amdhsa_user_sgpr_kernarg_preload_offset 0
		.amdhsa_user_sgpr_private_segment_size 0
		.amdhsa_wavefront_size32 1
		.amdhsa_uses_dynamic_stack 0
		.amdhsa_enable_private_segment 0
		.amdhsa_system_sgpr_workgroup_id_x 1
		.amdhsa_system_sgpr_workgroup_id_y 1
		.amdhsa_system_sgpr_workgroup_id_z 0
		.amdhsa_system_sgpr_workgroup_info 0
		.amdhsa_system_vgpr_workitem_id 0
		.amdhsa_next_free_vgpr 4
		.amdhsa_next_free_sgpr 16
		.amdhsa_named_barrier_count 0
		.amdhsa_reserve_vcc 1
		.amdhsa_float_round_mode_32 0
		.amdhsa_float_round_mode_16_64 0
		.amdhsa_float_denorm_mode_32 3
		.amdhsa_float_denorm_mode_16_64 3
		.amdhsa_fp16_overflow 0
		.amdhsa_memory_ordered 1
		.amdhsa_forward_progress 1
		.amdhsa_inst_pref_size 5
		.amdhsa_round_robin_scheduling 0
		.amdhsa_exception_fp_ieee_invalid_op 0
		.amdhsa_exception_fp_denorm_src 0
		.amdhsa_exception_fp_ieee_div_zero 0
		.amdhsa_exception_fp_ieee_overflow 0
		.amdhsa_exception_fp_ieee_underflow 0
		.amdhsa_exception_fp_ieee_inexact 0
		.amdhsa_exception_int_div_zero 0
	.end_amdhsa_kernel
	.section	.text._ZN9rocsolver6v33100L19bdsqr_chk_completedI19rocblas_complex_numIfEfEEviiPiPT0_lS4_,"axG",@progbits,_ZN9rocsolver6v33100L19bdsqr_chk_completedI19rocblas_complex_numIfEfEEviiPiPT0_lS4_,comdat
.Lfunc_end34:
	.size	_ZN9rocsolver6v33100L19bdsqr_chk_completedI19rocblas_complex_numIfEfEEviiPiPT0_lS4_, .Lfunc_end34-_ZN9rocsolver6v33100L19bdsqr_chk_completedI19rocblas_complex_numIfEfEEviiPiPT0_lS4_
                                        ; -- End function
	.set _ZN9rocsolver6v33100L19bdsqr_chk_completedI19rocblas_complex_numIfEfEEviiPiPT0_lS4_.num_vgpr, 4
	.set _ZN9rocsolver6v33100L19bdsqr_chk_completedI19rocblas_complex_numIfEfEEviiPiPT0_lS4_.num_agpr, 0
	.set _ZN9rocsolver6v33100L19bdsqr_chk_completedI19rocblas_complex_numIfEfEEviiPiPT0_lS4_.numbered_sgpr, 16
	.set _ZN9rocsolver6v33100L19bdsqr_chk_completedI19rocblas_complex_numIfEfEEviiPiPT0_lS4_.num_named_barrier, 0
	.set _ZN9rocsolver6v33100L19bdsqr_chk_completedI19rocblas_complex_numIfEfEEviiPiPT0_lS4_.private_seg_size, 0
	.set _ZN9rocsolver6v33100L19bdsqr_chk_completedI19rocblas_complex_numIfEfEEviiPiPT0_lS4_.uses_vcc, 1
	.set _ZN9rocsolver6v33100L19bdsqr_chk_completedI19rocblas_complex_numIfEfEEviiPiPT0_lS4_.uses_flat_scratch, 0
	.set _ZN9rocsolver6v33100L19bdsqr_chk_completedI19rocblas_complex_numIfEfEEviiPiPT0_lS4_.has_dyn_sized_stack, 0
	.set _ZN9rocsolver6v33100L19bdsqr_chk_completedI19rocblas_complex_numIfEfEEviiPiPT0_lS4_.has_recursion, 0
	.set _ZN9rocsolver6v33100L19bdsqr_chk_completedI19rocblas_complex_numIfEfEEviiPiPT0_lS4_.has_indirect_call, 0
	.section	.AMDGPU.csdata,"",@progbits
; Kernel info:
; codeLenInByte = 532
; TotalNumSgprs: 18
; NumVgprs: 4
; ScratchSize: 0
; MemoryBound: 0
; FloatMode: 240
; IeeeMode: 1
; LDSByteSize: 0 bytes/workgroup (compile time only)
; SGPRBlocks: 0
; VGPRBlocks: 0
; NumSGPRsForWavesPerEU: 18
; NumVGPRsForWavesPerEU: 4
; NamedBarCnt: 0
; Occupancy: 16
; WaveLimiterHint : 0
; COMPUTE_PGM_RSRC2:SCRATCH_EN: 0
; COMPUTE_PGM_RSRC2:USER_SGPR: 2
; COMPUTE_PGM_RSRC2:TRAP_HANDLER: 0
; COMPUTE_PGM_RSRC2:TGID_X_EN: 1
; COMPUTE_PGM_RSRC2:TGID_Y_EN: 1
; COMPUTE_PGM_RSRC2:TGID_Z_EN: 0
; COMPUTE_PGM_RSRC2:TIDIG_COMP_CNT: 0
	.section	.text._ZN9rocsolver6v33100L14bdsqr_finalizeI19rocblas_complex_numIfEfPS3_S4_S4_EEviiiiPT0_lS6_lT1_iilT2_iilT3_iilPiSA_SA_,"axG",@progbits,_ZN9rocsolver6v33100L14bdsqr_finalizeI19rocblas_complex_numIfEfPS3_S4_S4_EEviiiiPT0_lS6_lT1_iilT2_iilT3_iilPiSA_SA_,comdat
	.globl	_ZN9rocsolver6v33100L14bdsqr_finalizeI19rocblas_complex_numIfEfPS3_S4_S4_EEviiiiPT0_lS6_lT1_iilT2_iilT3_iilPiSA_SA_ ; -- Begin function _ZN9rocsolver6v33100L14bdsqr_finalizeI19rocblas_complex_numIfEfPS3_S4_S4_EEviiiiPT0_lS6_lT1_iilT2_iilT3_iilPiSA_SA_
	.p2align	8
	.type	_ZN9rocsolver6v33100L14bdsqr_finalizeI19rocblas_complex_numIfEfPS3_S4_S4_EEviiiiPT0_lS6_lT1_iilT2_iilT3_iilPiSA_SA_,@function
_ZN9rocsolver6v33100L14bdsqr_finalizeI19rocblas_complex_numIfEfPS3_S4_S4_EEviiiiPT0_lS6_lT1_iilT2_iilT3_iilPiSA_SA_: ; @_ZN9rocsolver6v33100L14bdsqr_finalizeI19rocblas_complex_numIfEfPS3_S4_S4_EEviiiiPT0_lS6_lT1_iilT2_iilT3_iilPiSA_SA_
; %bb.0:
	s_load_b256 s[36:43], s[0:1], 0x70
	s_bfe_u32 s2, ttmp6, 0x40010
	s_bfe_u32 s3, ttmp6, 0x40004
	s_add_co_i32 s2, s2, 1
	s_getreg_b32 s4, hwreg(HW_REG_IB_STS2, 6, 4)
	s_mul_i32 s2, ttmp7, s2
	s_mov_b32 s32, 0
	s_add_co_i32 s3, s3, s2
	s_cmp_eq_u32 s4, 0
	s_cselect_b32 s8, ttmp7, s3
	s_delay_alu instid0(SALU_CYCLE_1) | instskip(NEXT) | instid1(SALU_CYCLE_1)
	s_ashr_i32 s9, s8, 31
	s_lshl_b64 s[22:23], s[8:9], 2
	s_wait_kmcnt 0x0
	s_add_nc_u64 s[2:3], s[42:43], s[22:23]
	s_load_b32 s2, s[2:3], 0x8
	s_wait_kmcnt 0x0
	s_cmp_gt_i32 s2, 1
	s_cbranch_scc1 .LBB35_311
; %bb.1:
	s_clause 0x2
	s_load_b64 s[2:3], s[0:1], 0x9c
	s_load_b256 s[44:51], s[0:1], 0x30
	s_load_b256 s[52:59], s[0:1], 0x10
	s_mov_b64 s[28:29], 0
	s_mov_b64 s[34:35], 0
	s_wait_kmcnt 0x0
	s_and_b32 s3, s3, 0xffff
	s_cmp_eq_u64 s[44:45], 0
	s_cbranch_scc1 .LBB35_3
; %bb.2:
	s_mul_u64 s[4:5], s[48:49], s[8:9]
	s_ashr_i32 s7, s46, 31
	s_lshl_b64 s[4:5], s[4:5], 3
	s_mov_b32 s6, s46
	s_add_nc_u64 s[4:5], s[44:45], s[4:5]
	s_lshl_b64 s[6:7], s[6:7], 3
	s_delay_alu instid0(SALU_CYCLE_1)
	s_add_nc_u64 s[34:35], s[4:5], s[6:7]
.LBB35_3:
	s_clause 0x1
	s_load_b64 s[42:43], s[0:1], 0x50
	s_load_b128 s[4:7], s[0:1], 0x58
	s_cmp_eq_u64 s[50:51], 0
	s_cbranch_scc1 .LBB35_5
; %bb.4:
	s_wait_kmcnt 0x0
	s_mul_u64 s[4:5], s[4:5], s[8:9]
	s_ashr_i32 s11, s42, 31
	s_lshl_b64 s[4:5], s[4:5], 3
	s_mov_b32 s10, s42
	s_add_nc_u64 s[4:5], s[50:51], s[4:5]
	s_lshl_b64 s[10:11], s[10:11], 3
	s_delay_alu instid0(SALU_CYCLE_1)
	s_add_nc_u64 s[28:29], s[4:5], s[10:11]
.LBB35_5:
	s_load_b64 s[48:49], s[0:1], 0x68
	s_wait_kmcnt 0x0
	s_cmp_eq_u64 s[6:7], 0
	s_mov_b64 s[44:45], 0
	s_cbranch_scc1 .LBB35_7
; %bb.6:
	s_mul_u64 s[4:5], s[36:37], s[8:9]
	s_ashr_i32 s11, s48, 31
	s_lshl_b64 s[4:5], s[4:5], 3
	s_mov_b32 s10, s48
	s_add_nc_u64 s[4:5], s[6:7], s[4:5]
	s_lshl_b64 s[6:7], s[10:11], 3
	s_delay_alu instid0(SALU_CYCLE_1)
	s_add_nc_u64 s[44:45], s[4:5], s[6:7]
.LBB35_7:
	v_and_b32_e32 v42, 0x3ff, v0
	v_bfe_u32 v43, v0, 10, 10
	s_and_b32 s21, s2, 0xffff
	s_load_b128 s[24:27], s[0:1], 0x0
	v_bfe_u32 v44, v0, 20, 10
	s_lshr_b32 s2, s2, 16
	v_mad_u32_u24 v1, v43, s21, v42
	s_mul_i32 s46, s2, s21
	s_mul_u64 s[4:5], s[54:55], s[8:9]
	s_and_b32 s3, s3, 0xffff
	s_lshl_b64 s[50:51], s[4:5], 2
	v_mad_u32 v41, s46, v44, v1
	s_add_nc_u64 s[36:37], s[52:53], s[50:51]
	s_mul_i32 s46, s46, s3
	s_delay_alu instid0(VALU_DEP_1)
	v_cmp_eq_u32_e64 s2, 0, v41
	s_wait_kmcnt 0x0
	s_cmp_lt_i32 s24, 1
	s_cbranch_scc1 .LBB35_22
; %bb.8:
	s_mul_u64 s[4:5], s[58:59], s[8:9]
	s_add_co_i32 s9, s24, -1
	s_lshl_b64 s[4:5], s[4:5], 2
	v_cmp_gt_u32_e64 s3, s25, v41
	v_mov_b32_e32 v1, 0
	s_cmp_lg_u32 s25, 0
	s_mov_b32 s7, 0
	s_add_nc_u64 s[4:5], s[56:57], s[4:5]
	s_cselect_b32 s16, -1, 0
	s_ashr_i32 s11, s47, 31
	s_mov_b32 s10, s47
	s_mov_b32 s6, s7
	;; [unrolled: 1-line block ×3, first 2 shown]
	s_branch .LBB35_11
.LBB35_9:                               ;   in Loop: Header=BB35_11 Depth=1
	s_wait_xcnt 0x0
	s_or_b32 exec_lo, exec_lo, s14
.LBB35_10:                              ;   in Loop: Header=BB35_11 Depth=1
	s_add_co_i32 s6, s6, 1
	s_delay_alu instid0(SALU_CYCLE_1)
	s_cmp_eq_u32 s6, s24
	s_cbranch_scc1 .LBB35_23
.LBB35_11:                              ; =>This Loop Header: Depth=1
                                        ;     Child Loop BB35_18 Depth 2
	s_cmp_ge_i32 s6, s9
	s_cbranch_scc1 .LBB35_14
; %bb.12:                               ;   in Loop: Header=BB35_11 Depth=1
	s_wait_xcnt 0x0
	s_lshl_b64 s[12:13], s[6:7], 2
	s_delay_alu instid0(SALU_CYCLE_1)
	s_add_nc_u64 s[12:13], s[4:5], s[12:13]
	global_load_b32 v0, v1, s[12:13]
	s_wait_loadcnt 0x0
	v_cmp_eq_f32_e32 vcc_lo, 0, v0
	s_cbranch_vccnz .LBB35_14
; %bb.13:                               ;   in Loop: Header=BB35_11 Depth=1
	s_add_co_i32 s42, s42, 1
.LBB35_14:                              ;   in Loop: Header=BB35_11 Depth=1
	s_wait_xcnt 0x0
	s_lshl_b64 s[12:13], s[6:7], 2
	s_delay_alu instid0(SALU_CYCLE_1)
	s_add_nc_u64 s[12:13], s[36:37], s[12:13]
	global_load_b32 v0, v1, s[12:13]
	s_wait_loadcnt 0x0
	v_cmp_ngt_f32_e32 vcc_lo, 0, v0
	s_cbranch_vccnz .LBB35_10
; %bb.15:                               ;   in Loop: Header=BB35_11 Depth=1
	s_and_not1_b32 vcc_lo, exec_lo, s16
	s_cbranch_vccnz .LBB35_20
; %bb.16:                               ;   in Loop: Header=BB35_11 Depth=1
	s_wait_xcnt 0x0
	s_and_saveexec_b32 s17, s3
	s_cbranch_execz .LBB35_19
; %bb.17:                               ;   in Loop: Header=BB35_11 Depth=1
	v_mov_b32_e32 v0, v41
	s_lshl_b64 s[14:15], s[6:7], 3
	s_mov_b32 s18, 0
	s_add_nc_u64 s[14:15], s[34:35], s[14:15]
.LBB35_18:                              ;   Parent Loop BB35_11 Depth=1
                                        ; =>  This Inner Loop Header: Depth=2
	s_delay_alu instid0(VALU_DEP_1) | instskip(SKIP_1) | instid1(VALU_DEP_1)
	v_mul_u64_e32 v[2:3], s[10:11], v[0:1]
	v_add_nc_u32_e32 v0, s46, v0
	v_cmp_le_u32_e32 vcc_lo, s25, v0
	s_or_b32 s18, vcc_lo, s18
	s_delay_alu instid0(VALU_DEP_3)
	v_lshl_add_u64 v[2:3], v[2:3], 3, s[14:15]
	global_load_b64 v[4:5], v[2:3], off
	s_wait_loadcnt 0x0
	v_pk_add_f32 v[4:5], v[4:5], 0 neg_lo:[1,1] neg_hi:[1,1]
	global_store_b64 v[2:3], v[4:5], off
	s_wait_xcnt 0x0
	s_and_not1_b32 exec_lo, exec_lo, s18
	s_cbranch_execnz .LBB35_18
.LBB35_19:                              ;   in Loop: Header=BB35_11 Depth=1
	s_or_b32 exec_lo, exec_lo, s17
	s_wait_storecnt 0x0
	s_barrier_signal -1
	s_barrier_wait -1
.LBB35_20:                              ;   in Loop: Header=BB35_11 Depth=1
	s_wait_xcnt 0x0
	s_and_saveexec_b32 s14, s2
	s_cbranch_execz .LBB35_9
; %bb.21:                               ;   in Loop: Header=BB35_11 Depth=1
	global_load_b32 v0, v1, s[12:13]
	s_wait_loadcnt 0x0
	v_xor_b32_e32 v0, 0x80000000, v0
	global_store_b32 v1, v0, s[12:13]
	s_branch .LBB35_9
.LBB35_22:
	s_mov_b32 s42, 0
.LBB35_23:
	s_delay_alu instid0(SALU_CYCLE_1)
	s_cmp_lt_i32 s42, 1
	s_mov_b32 s2, -1
	s_cbranch_scc0 .LBB35_308
; %bb.24:
	s_mul_i32 s2, s8, s24
	s_mov_b32 s54, 0
	s_lshl_b32 s2, s2, 1
	s_wait_storecnt 0x0
	s_ashr_i32 s3, s2, 31
	s_barrier_signal -1
	s_lshl_b64 s[2:3], s[2:3], 2
	s_cmp_lg_u64 s[40:41], 0
	s_add_nc_u64 s[2:3], s[40:41], s[2:3]
	s_barrier_wait -1
	s_cselect_b32 s41, s3, 0
	s_cselect_b32 s40, s2, 0
	s_delay_alu instid0(SALU_CYCLE_1)
	s_cmp_lg_u64 s[40:41], 0
	s_cbranch_scc0 .LBB35_43
; %bb.25:
	s_or_b32 s2, s26, s25
	s_delay_alu instid0(SALU_CYCLE_1) | instskip(SKIP_4) | instid1(SALU_CYCLE_1)
	s_or_b32 s2, s2, s27
	s_cmp_gt_i32 s24, 0
	s_cselect_b32 s57, -1, 0
	s_cmp_lg_u64 s[52:53], 0
	s_cselect_b32 s3, -1, 0
	s_and_b32 s48, s57, s3
	s_cmp_eq_u32 s2, 0
	s_cbranch_scc1 .LBB35_44
; %bb.26:
	s_mov_b32 s58, -1
	s_mov_b32 s56, 0
	s_and_b32 vcc_lo, exec_lo, s48
	s_cbranch_vccz .LBB35_142
; %bb.27:
	s_mov_b32 s2, exec_lo
	s_barrier_signal -1
	s_barrier_wait -1
	s_wait_xcnt 0x0
	v_cmpx_gt_u32_e64 s24, v41
	s_cbranch_execz .LBB35_30
; %bb.28:
	v_mov_b32_e32 v0, v41
	s_mov_b32 s3, 0
.LBB35_29:                              ; =>This Inner Loop Header: Depth=1
	global_store_b32 v0, v0, s[40:41] scale_offset
	s_wait_xcnt 0x0
	v_add_nc_u32_e32 v0, s46, v0
	s_delay_alu instid0(VALU_DEP_1) | instskip(SKIP_1) | instid1(SALU_CYCLE_1)
	v_cmp_le_u32_e32 vcc_lo, s24, v0
	s_or_b32 s3, vcc_lo, s3
	s_and_not1_b32 exec_lo, exec_lo, s3
	s_cbranch_execnz .LBB35_29
.LBB35_30:
	s_or_b32 exec_lo, exec_lo, s2
	v_or3_b32 v0, v43, v44, v42
	s_mov_b32 s12, exec_lo
	s_wait_storecnt 0x0
	s_barrier_signal -1
	s_barrier_wait -1
	v_cmpx_eq_u32_e32 0, v0
	s_cbranch_execz .LBB35_126
; %bb.31:
	s_cmp_lt_u32 s24, 0x2be
	s_cbranch_scc1 .LBB35_45
; %bb.32:
	v_mov_b32_e32 v0, 0
	s_mov_b64 s[2:3], 0xfffffffffffff50c
	s_add_nc_u64 s[4:5], s[40:41], 0xaf4
	s_movk_i32 s13, 0x2bd
	s_movk_i32 s14, 0x57a
	s_mov_b64 s[6:7], s[36:37]
	s_branch .LBB35_34
.LBB35_33:                              ;   in Loop: Header=BB35_34 Depth=1
	v_mov_b32_e32 v3, s8
	s_add_co_i32 s13, s13, 1
	s_add_co_i32 s14, s14, 1
	s_add_nc_u64 s[4:5], s[4:5], 4
	s_add_nc_u64 s[6:7], s[6:7], 4
	s_cmp_eq_u32 s13, s24
	s_clause 0x1
	global_store_b32 v3, v1, s[36:37] scale_offset
	global_store_b32 v3, v2, s[40:41] scale_offset
	s_cbranch_scc1 .LBB35_45
.LBB35_34:                              ; =>This Loop Header: Depth=1
                                        ;     Child Loop BB35_35 Depth 2
	s_wait_xcnt 0x0
	v_mov_b32_e32 v3, s13
	s_mov_b64 s[8:9], s[6:7]
	s_mov_b64 s[10:11], s[4:5]
	s_mov_b32 s15, s14
	s_clause 0x1
	global_load_b32 v1, v3, s[36:37] scale_offset
	global_load_b32 v2, v3, s[40:41] scale_offset
.LBB35_35:                              ;   Parent Loop BB35_34 Depth=1
                                        ; =>  This Inner Loop Header: Depth=2
	global_load_b32 v3, v0, s[8:9]
	s_mov_b32 s17, -1
	s_mov_b32 s18, -1
                                        ; implicit-def: $sgpr16
	s_wait_loadcnt 0x0
	v_cmp_nlt_f32_e32 vcc_lo, v3, v1
	s_cbranch_vccnz .LBB35_37
; %bb.36:                               ;   in Loop: Header=BB35_35 Depth=2
	global_load_b32 v4, v0, s[10:11] offset:-2804
	s_add_co_i32 s16, s15, 0xfffffd43
	s_add_nc_u64 s[30:31], s[10:11], s[2:3]
	s_cmp_lt_i32 s16, 0x57a
	global_store_b32 v0, v3, s[8:9] offset:2804
	s_wait_xcnt 0x0
	s_add_nc_u64 s[8:9], s[8:9], s[2:3]
	s_mov_b32 s17, 0
	s_cselect_b32 s18, -1, 0
	s_wait_loadcnt 0x0
	global_store_b32 v0, v4, s[10:11]
	s_wait_xcnt 0x0
	s_mov_b64 s[10:11], s[30:31]
.LBB35_37:                              ;   in Loop: Header=BB35_35 Depth=2
	s_and_not1_b32 vcc_lo, exec_lo, s18
	s_cbranch_vccz .LBB35_39
; %bb.38:                               ;   in Loop: Header=BB35_35 Depth=2
	s_mov_b32 s15, s16
	s_branch .LBB35_35
.LBB35_39:                              ;   in Loop: Header=BB35_34 Depth=1
	s_and_not1_b32 vcc_lo, exec_lo, s17
	s_wait_xcnt 0x0
	s_mov_b32 s9, -1
                                        ; implicit-def: $sgpr8
	s_cbranch_vccz .LBB35_41
; %bb.40:                               ;   in Loop: Header=BB35_34 Depth=1
	s_add_co_i32 s8, s16, 0xfffffd43
	s_mov_b32 s9, 0
.LBB35_41:                              ;   in Loop: Header=BB35_34 Depth=1
	s_delay_alu instid0(SALU_CYCLE_1)
	s_and_not1_b32 vcc_lo, exec_lo, s9
	s_cbranch_vccnz .LBB35_33
; %bb.42:                               ;   in Loop: Header=BB35_34 Depth=1
	s_add_co_i32 s8, s15, 0xfffffd43
	s_branch .LBB35_33
.LBB35_43:
	s_branch .LBB35_284
.LBB35_44:
	s_mov_b32 s56, 0
	s_cbranch_execnz .LBB35_168
	s_branch .LBB35_279
.LBB35_45:
	s_cmp_lt_i32 s24, 0x12e
	s_cbranch_scc1 .LBB35_57
; %bb.46:
	v_mov_b32_e32 v0, 0
	s_mov_b64 s[2:3], 0xfffffffffffffb4c
	s_add_nc_u64 s[4:5], s[40:41], 0x4b4
	s_movk_i32 s13, 0x12d
	s_movk_i32 s14, 0x25a
	s_mov_b64 s[6:7], s[36:37]
	s_branch .LBB35_48
.LBB35_47:                              ;   in Loop: Header=BB35_48 Depth=1
	v_mov_b32_e32 v3, s8
	s_add_co_i32 s13, s13, 1
	s_add_co_i32 s14, s14, 1
	s_add_nc_u64 s[4:5], s[4:5], 4
	s_add_nc_u64 s[6:7], s[6:7], 4
	s_cmp_lg_u32 s13, s24
	s_clause 0x1
	global_store_b32 v3, v1, s[36:37] scale_offset
	global_store_b32 v3, v2, s[40:41] scale_offset
	s_cbranch_scc0 .LBB35_57
.LBB35_48:                              ; =>This Loop Header: Depth=1
                                        ;     Child Loop BB35_49 Depth 2
	s_wait_xcnt 0x0
	v_mov_b32_e32 v3, s13
	s_mov_b64 s[8:9], s[6:7]
	s_mov_b64 s[10:11], s[4:5]
	s_mov_b32 s15, s14
	s_clause 0x1
	global_load_b32 v1, v3, s[36:37] scale_offset
	global_load_b32 v2, v3, s[40:41] scale_offset
.LBB35_49:                              ;   Parent Loop BB35_48 Depth=1
                                        ; =>  This Inner Loop Header: Depth=2
	global_load_b32 v3, v0, s[8:9]
	s_mov_b32 s17, -1
	s_mov_b32 s18, -1
                                        ; implicit-def: $sgpr16
	s_wait_loadcnt 0x0
	v_cmp_nlt_f32_e32 vcc_lo, v3, v1
	s_cbranch_vccnz .LBB35_51
; %bb.50:                               ;   in Loop: Header=BB35_49 Depth=2
	global_load_b32 v4, v0, s[10:11] offset:-1204
	s_add_co_i32 s16, s15, 0xfffffed3
	s_add_nc_u64 s[30:31], s[10:11], s[2:3]
	s_cmp_lt_i32 s16, 0x25a
	global_store_b32 v0, v3, s[8:9] offset:1204
	s_wait_xcnt 0x0
	s_add_nc_u64 s[8:9], s[8:9], s[2:3]
	s_mov_b32 s17, 0
	s_cselect_b32 s18, -1, 0
	s_wait_loadcnt 0x0
	global_store_b32 v0, v4, s[10:11]
	s_wait_xcnt 0x0
	s_mov_b64 s[10:11], s[30:31]
.LBB35_51:                              ;   in Loop: Header=BB35_49 Depth=2
	s_and_not1_b32 vcc_lo, exec_lo, s18
	s_cbranch_vccz .LBB35_53
; %bb.52:                               ;   in Loop: Header=BB35_49 Depth=2
	s_mov_b32 s15, s16
	s_branch .LBB35_49
.LBB35_53:                              ;   in Loop: Header=BB35_48 Depth=1
	s_and_not1_b32 vcc_lo, exec_lo, s17
	s_wait_xcnt 0x0
	s_mov_b32 s9, -1
                                        ; implicit-def: $sgpr8
	s_cbranch_vccz .LBB35_55
; %bb.54:                               ;   in Loop: Header=BB35_48 Depth=1
	s_add_co_i32 s8, s16, 0xfffffed3
	s_mov_b32 s9, 0
.LBB35_55:                              ;   in Loop: Header=BB35_48 Depth=1
	s_delay_alu instid0(SALU_CYCLE_1)
	s_and_not1_b32 vcc_lo, exec_lo, s9
	s_cbranch_vccnz .LBB35_47
; %bb.56:                               ;   in Loop: Header=BB35_48 Depth=1
	s_add_co_i32 s8, s15, 0xfffffed3
	s_branch .LBB35_47
.LBB35_57:
	s_cmp_lt_i32 s24, 0x85
	s_cbranch_scc1 .LBB35_69
; %bb.58:
	v_mov_b32_e32 v0, 0
	s_mov_b64 s[2:3], 0xfffffffffffffdf0
	s_add_nc_u64 s[4:5], s[40:41], 0x210
	s_movk_i32 s13, 0x84
	s_movk_i32 s14, 0x108
	s_mov_b64 s[6:7], s[36:37]
	s_branch .LBB35_60
.LBB35_59:                              ;   in Loop: Header=BB35_60 Depth=1
	v_mov_b32_e32 v3, s8
	s_add_co_i32 s13, s13, 1
	s_add_co_i32 s14, s14, 1
	s_add_nc_u64 s[4:5], s[4:5], 4
	s_add_nc_u64 s[6:7], s[6:7], 4
	s_cmp_lg_u32 s13, s24
	s_clause 0x1
	global_store_b32 v3, v1, s[36:37] scale_offset
	global_store_b32 v3, v2, s[40:41] scale_offset
	s_cbranch_scc0 .LBB35_69
.LBB35_60:                              ; =>This Loop Header: Depth=1
                                        ;     Child Loop BB35_61 Depth 2
	s_wait_xcnt 0x0
	v_mov_b32_e32 v3, s13
	s_mov_b64 s[8:9], s[6:7]
	s_mov_b64 s[10:11], s[4:5]
	s_mov_b32 s15, s14
	s_clause 0x1
	global_load_b32 v1, v3, s[36:37] scale_offset
	global_load_b32 v2, v3, s[40:41] scale_offset
.LBB35_61:                              ;   Parent Loop BB35_60 Depth=1
                                        ; =>  This Inner Loop Header: Depth=2
	global_load_b32 v3, v0, s[8:9]
	s_mov_b32 s17, -1
	s_mov_b32 s18, -1
                                        ; implicit-def: $sgpr16
	s_wait_loadcnt 0x0
	v_cmp_nlt_f32_e32 vcc_lo, v3, v1
	s_cbranch_vccnz .LBB35_63
; %bb.62:                               ;   in Loop: Header=BB35_61 Depth=2
	global_load_b32 v4, v0, s[10:11] offset:-528
	s_add_co_i32 s16, s15, 0xffffff7c
	s_add_nc_u64 s[30:31], s[10:11], s[2:3]
	s_cmp_lt_i32 s16, 0x108
	global_store_b32 v0, v3, s[8:9] offset:528
	s_wait_xcnt 0x0
	s_add_nc_u64 s[8:9], s[8:9], s[2:3]
	s_mov_b32 s17, 0
	s_cselect_b32 s18, -1, 0
	s_wait_loadcnt 0x0
	global_store_b32 v0, v4, s[10:11]
	s_wait_xcnt 0x0
	s_mov_b64 s[10:11], s[30:31]
.LBB35_63:                              ;   in Loop: Header=BB35_61 Depth=2
	s_and_not1_b32 vcc_lo, exec_lo, s18
	s_cbranch_vccz .LBB35_65
; %bb.64:                               ;   in Loop: Header=BB35_61 Depth=2
	s_mov_b32 s15, s16
	s_branch .LBB35_61
.LBB35_65:                              ;   in Loop: Header=BB35_60 Depth=1
	s_and_not1_b32 vcc_lo, exec_lo, s17
	s_wait_xcnt 0x0
	s_mov_b32 s9, -1
                                        ; implicit-def: $sgpr8
	s_cbranch_vccz .LBB35_67
; %bb.66:                               ;   in Loop: Header=BB35_60 Depth=1
	s_add_co_i32 s8, s16, 0xffffff7c
	s_mov_b32 s9, 0
.LBB35_67:                              ;   in Loop: Header=BB35_60 Depth=1
	s_delay_alu instid0(SALU_CYCLE_1)
	s_and_not1_b32 vcc_lo, exec_lo, s9
	s_cbranch_vccnz .LBB35_59
; %bb.68:                               ;   in Loop: Header=BB35_60 Depth=1
	s_add_co_i32 s8, s15, 0xffffff7c
	s_branch .LBB35_59
.LBB35_69:
	s_cmp_lt_i32 s24, 58
	s_cbranch_scc1 .LBB35_81
; %bb.70:
	v_mov_b32_e32 v0, 0
	s_mov_b64 s[2:3], 0xffffffffffffff1c
	s_add_nc_u64 s[4:5], s[40:41], 0xe4
	s_mov_b32 s13, 57
	s_movk_i32 s14, 0x72
	s_mov_b64 s[6:7], s[36:37]
	s_branch .LBB35_72
.LBB35_71:                              ;   in Loop: Header=BB35_72 Depth=1
	v_mov_b32_e32 v3, s8
	s_add_co_i32 s13, s13, 1
	s_add_co_i32 s14, s14, 1
	s_add_nc_u64 s[4:5], s[4:5], 4
	s_add_nc_u64 s[6:7], s[6:7], 4
	s_cmp_lg_u32 s13, s24
	s_clause 0x1
	global_store_b32 v3, v1, s[36:37] scale_offset
	global_store_b32 v3, v2, s[40:41] scale_offset
	s_cbranch_scc0 .LBB35_81
.LBB35_72:                              ; =>This Loop Header: Depth=1
                                        ;     Child Loop BB35_73 Depth 2
	s_wait_xcnt 0x0
	v_mov_b32_e32 v3, s13
	s_mov_b64 s[8:9], s[6:7]
	s_mov_b64 s[10:11], s[4:5]
	s_mov_b32 s15, s14
	s_clause 0x1
	global_load_b32 v1, v3, s[36:37] scale_offset
	global_load_b32 v2, v3, s[40:41] scale_offset
.LBB35_73:                              ;   Parent Loop BB35_72 Depth=1
                                        ; =>  This Inner Loop Header: Depth=2
	global_load_b32 v3, v0, s[8:9]
	s_mov_b32 s17, -1
	s_mov_b32 s18, -1
                                        ; implicit-def: $sgpr16
	s_wait_loadcnt 0x0
	v_cmp_nlt_f32_e32 vcc_lo, v3, v1
	s_cbranch_vccnz .LBB35_75
; %bb.74:                               ;   in Loop: Header=BB35_73 Depth=2
	global_load_b32 v4, v0, s[10:11] offset:-228
	s_sub_co_i32 s16, s15, 57
	s_add_nc_u64 s[30:31], s[10:11], s[2:3]
	s_cmp_lt_i32 s16, 0x72
	global_store_b32 v0, v3, s[8:9] offset:228
	s_wait_xcnt 0x0
	s_add_nc_u64 s[8:9], s[8:9], s[2:3]
	s_mov_b32 s17, 0
	s_cselect_b32 s18, -1, 0
	s_wait_loadcnt 0x0
	global_store_b32 v0, v4, s[10:11]
	s_wait_xcnt 0x0
	s_mov_b64 s[10:11], s[30:31]
.LBB35_75:                              ;   in Loop: Header=BB35_73 Depth=2
	s_and_not1_b32 vcc_lo, exec_lo, s18
	s_cbranch_vccz .LBB35_77
; %bb.76:                               ;   in Loop: Header=BB35_73 Depth=2
	s_mov_b32 s15, s16
	s_branch .LBB35_73
.LBB35_77:                              ;   in Loop: Header=BB35_72 Depth=1
	s_and_not1_b32 vcc_lo, exec_lo, s17
	s_wait_xcnt 0x0
	s_mov_b32 s9, -1
                                        ; implicit-def: $sgpr8
	s_cbranch_vccz .LBB35_79
; %bb.78:                               ;   in Loop: Header=BB35_72 Depth=1
	s_sub_co_i32 s8, s16, 57
	s_mov_b32 s9, 0
.LBB35_79:                              ;   in Loop: Header=BB35_72 Depth=1
	s_delay_alu instid0(SALU_CYCLE_1)
	s_and_not1_b32 vcc_lo, exec_lo, s9
	s_cbranch_vccnz .LBB35_71
; %bb.80:                               ;   in Loop: Header=BB35_72 Depth=1
	s_sub_co_i32 s8, s15, 57
	s_branch .LBB35_71
.LBB35_81:
	s_cmp_lt_i32 s24, 24
	s_cbranch_scc1 .LBB35_93
; %bb.82:
	v_mov_b32_e32 v0, 0
	s_mov_b64 s[2:3], 0xffffffffffffffa4
	s_add_nc_u64 s[4:5], s[40:41], 0x5c
	s_mov_b32 s13, 23
	s_mov_b32 s14, 46
	s_mov_b64 s[6:7], s[36:37]
	s_branch .LBB35_84
.LBB35_83:                              ;   in Loop: Header=BB35_84 Depth=1
	v_mov_b32_e32 v3, s8
	s_add_co_i32 s13, s13, 1
	s_add_co_i32 s14, s14, 1
	s_add_nc_u64 s[4:5], s[4:5], 4
	s_add_nc_u64 s[6:7], s[6:7], 4
	s_cmp_lg_u32 s13, s24
	s_clause 0x1
	global_store_b32 v3, v1, s[36:37] scale_offset
	global_store_b32 v3, v2, s[40:41] scale_offset
	s_cbranch_scc0 .LBB35_93
.LBB35_84:                              ; =>This Loop Header: Depth=1
                                        ;     Child Loop BB35_85 Depth 2
	s_wait_xcnt 0x0
	v_mov_b32_e32 v3, s13
	s_mov_b64 s[8:9], s[6:7]
	s_mov_b64 s[10:11], s[4:5]
	s_mov_b32 s15, s14
	s_clause 0x1
	global_load_b32 v1, v3, s[36:37] scale_offset
	global_load_b32 v2, v3, s[40:41] scale_offset
.LBB35_85:                              ;   Parent Loop BB35_84 Depth=1
                                        ; =>  This Inner Loop Header: Depth=2
	global_load_b32 v3, v0, s[8:9]
	s_mov_b32 s17, -1
	s_mov_b32 s18, -1
                                        ; implicit-def: $sgpr16
	s_wait_loadcnt 0x0
	v_cmp_nlt_f32_e32 vcc_lo, v3, v1
	s_cbranch_vccnz .LBB35_87
; %bb.86:                               ;   in Loop: Header=BB35_85 Depth=2
	global_load_b32 v4, v0, s[10:11] offset:-92
	s_sub_co_i32 s16, s15, 23
	s_add_nc_u64 s[30:31], s[10:11], s[2:3]
	s_cmp_lt_i32 s16, 46
	global_store_b32 v0, v3, s[8:9] offset:92
	s_wait_xcnt 0x0
	s_add_nc_u64 s[8:9], s[8:9], s[2:3]
	s_mov_b32 s17, 0
	s_cselect_b32 s18, -1, 0
	s_wait_loadcnt 0x0
	global_store_b32 v0, v4, s[10:11]
	s_wait_xcnt 0x0
	s_mov_b64 s[10:11], s[30:31]
.LBB35_87:                              ;   in Loop: Header=BB35_85 Depth=2
	s_and_not1_b32 vcc_lo, exec_lo, s18
	s_cbranch_vccz .LBB35_89
; %bb.88:                               ;   in Loop: Header=BB35_85 Depth=2
	s_mov_b32 s15, s16
	s_branch .LBB35_85
.LBB35_89:                              ;   in Loop: Header=BB35_84 Depth=1
	s_and_not1_b32 vcc_lo, exec_lo, s17
	s_wait_xcnt 0x0
	s_mov_b32 s9, -1
                                        ; implicit-def: $sgpr8
	s_cbranch_vccz .LBB35_91
; %bb.90:                               ;   in Loop: Header=BB35_84 Depth=1
	s_sub_co_i32 s8, s16, 23
	s_mov_b32 s9, 0
.LBB35_91:                              ;   in Loop: Header=BB35_84 Depth=1
	s_delay_alu instid0(SALU_CYCLE_1)
	s_and_not1_b32 vcc_lo, exec_lo, s9
	s_cbranch_vccnz .LBB35_83
; %bb.92:                               ;   in Loop: Header=BB35_84 Depth=1
	s_sub_co_i32 s8, s15, 23
	s_branch .LBB35_83
.LBB35_93:
	s_cmp_lt_i32 s24, 11
	s_cbranch_scc1 .LBB35_105
; %bb.94:
	v_mov_b32_e32 v0, 0
	s_mov_b64 s[2:3], 0xffffffffffffffd8
	s_add_nc_u64 s[4:5], s[40:41], 40
	s_mov_b32 s13, 10
	s_mov_b32 s14, 20
	s_mov_b64 s[6:7], s[36:37]
	s_branch .LBB35_96
.LBB35_95:                              ;   in Loop: Header=BB35_96 Depth=1
	v_mov_b32_e32 v3, s8
	s_add_co_i32 s13, s13, 1
	s_add_co_i32 s14, s14, 1
	s_add_nc_u64 s[4:5], s[4:5], 4
	s_add_nc_u64 s[6:7], s[6:7], 4
	s_cmp_lg_u32 s13, s24
	s_clause 0x1
	global_store_b32 v3, v1, s[36:37] scale_offset
	global_store_b32 v3, v2, s[40:41] scale_offset
	s_cbranch_scc0 .LBB35_105
.LBB35_96:                              ; =>This Loop Header: Depth=1
                                        ;     Child Loop BB35_97 Depth 2
	s_wait_xcnt 0x0
	v_mov_b32_e32 v3, s13
	s_mov_b64 s[8:9], s[6:7]
	s_mov_b64 s[10:11], s[4:5]
	s_mov_b32 s15, s14
	s_clause 0x1
	global_load_b32 v1, v3, s[36:37] scale_offset
	global_load_b32 v2, v3, s[40:41] scale_offset
.LBB35_97:                              ;   Parent Loop BB35_96 Depth=1
                                        ; =>  This Inner Loop Header: Depth=2
	global_load_b32 v3, v0, s[8:9]
	s_mov_b32 s17, -1
	s_mov_b32 s18, -1
                                        ; implicit-def: $sgpr16
	s_wait_loadcnt 0x0
	v_cmp_nlt_f32_e32 vcc_lo, v3, v1
	s_cbranch_vccnz .LBB35_99
; %bb.98:                               ;   in Loop: Header=BB35_97 Depth=2
	global_load_b32 v4, v0, s[10:11] offset:-40
	s_add_co_i32 s16, s15, -10
	s_add_nc_u64 s[30:31], s[10:11], s[2:3]
	s_cmp_lt_i32 s16, 20
	global_store_b32 v0, v3, s[8:9] offset:40
	s_wait_xcnt 0x0
	s_add_nc_u64 s[8:9], s[8:9], s[2:3]
	s_mov_b32 s17, 0
	s_cselect_b32 s18, -1, 0
	s_wait_loadcnt 0x0
	global_store_b32 v0, v4, s[10:11]
	s_wait_xcnt 0x0
	s_mov_b64 s[10:11], s[30:31]
.LBB35_99:                              ;   in Loop: Header=BB35_97 Depth=2
	s_and_not1_b32 vcc_lo, exec_lo, s18
	s_cbranch_vccz .LBB35_101
; %bb.100:                              ;   in Loop: Header=BB35_97 Depth=2
	s_mov_b32 s15, s16
	s_branch .LBB35_97
.LBB35_101:                             ;   in Loop: Header=BB35_96 Depth=1
	s_and_not1_b32 vcc_lo, exec_lo, s17
	s_wait_xcnt 0x0
	s_mov_b32 s9, -1
                                        ; implicit-def: $sgpr8
	s_cbranch_vccz .LBB35_103
; %bb.102:                              ;   in Loop: Header=BB35_96 Depth=1
	s_add_co_i32 s8, s16, -10
	s_mov_b32 s9, 0
.LBB35_103:                             ;   in Loop: Header=BB35_96 Depth=1
	s_delay_alu instid0(SALU_CYCLE_1)
	s_and_not1_b32 vcc_lo, exec_lo, s9
	s_cbranch_vccnz .LBB35_95
; %bb.104:                              ;   in Loop: Header=BB35_96 Depth=1
	s_add_co_i32 s8, s15, -10
	s_branch .LBB35_95
.LBB35_105:
	s_cmp_lt_i32 s24, 5
	s_cbranch_scc1 .LBB35_117
; %bb.106:
	v_mov_b32_e32 v0, 0
	s_add_nc_u64 s[4:5], s[52:53], s[50:51]
	s_add_nc_u64 s[2:3], s[40:41], 16
	;; [unrolled: 1-line block ×3, first 2 shown]
	s_mov_b32 s10, 4
	s_mov_b32 s11, 8
	s_branch .LBB35_108
.LBB35_107:                             ;   in Loop: Header=BB35_108 Depth=1
	v_mov_b32_e32 v3, s6
	s_add_co_i32 s10, s10, 1
	s_add_co_i32 s11, s11, 1
	s_add_nc_u64 s[2:3], s[2:3], 4
	s_add_nc_u64 s[4:5], s[4:5], 4
	s_cmp_lg_u32 s10, s24
	s_clause 0x1
	global_store_b32 v3, v1, s[36:37] scale_offset
	global_store_b32 v3, v2, s[40:41] scale_offset
	s_cbranch_scc0 .LBB35_117
.LBB35_108:                             ; =>This Loop Header: Depth=1
                                        ;     Child Loop BB35_109 Depth 2
	s_wait_xcnt 0x0
	v_mov_b32_e32 v3, s10
	s_mov_b64 s[6:7], s[4:5]
	s_mov_b64 s[8:9], s[2:3]
	s_mov_b32 s13, s11
	s_clause 0x1
	global_load_b32 v1, v3, s[36:37] scale_offset
	global_load_b32 v2, v3, s[40:41] scale_offset
.LBB35_109:                             ;   Parent Loop BB35_108 Depth=1
                                        ; =>  This Inner Loop Header: Depth=2
	global_load_b32 v3, v0, s[6:7] offset:-16
	s_mov_b32 s15, -1
	s_mov_b32 s16, -1
                                        ; implicit-def: $sgpr14
	s_wait_loadcnt 0x0
	v_cmp_nlt_f32_e32 vcc_lo, v3, v1
	s_cbranch_vccnz .LBB35_111
; %bb.110:                              ;   in Loop: Header=BB35_109 Depth=2
	global_load_b32 v4, v0, s[8:9] offset:-16
	s_add_co_i32 s14, s13, -4
	s_add_nc_u64 s[18:19], s[8:9], -16
	s_cmp_lt_i32 s14, 8
	s_mov_b32 s15, 0
	s_cselect_b32 s16, -1, 0
	global_store_b32 v0, v3, s[6:7]
	s_wait_loadcnt 0x0
	global_store_b32 v0, v4, s[8:9]
	s_wait_xcnt 0x0
	s_mov_b64 s[8:9], s[18:19]
.LBB35_111:                             ;   in Loop: Header=BB35_109 Depth=2
	s_and_not1_b32 vcc_lo, exec_lo, s16
	s_wait_xcnt 0x0
	s_add_nc_u64 s[6:7], s[6:7], -16
	s_cbranch_vccz .LBB35_113
; %bb.112:                              ;   in Loop: Header=BB35_109 Depth=2
	s_mov_b32 s13, s14
	s_branch .LBB35_109
.LBB35_113:                             ;   in Loop: Header=BB35_108 Depth=1
	s_and_not1_b32 vcc_lo, exec_lo, s15
	s_mov_b32 s7, -1
                                        ; implicit-def: $sgpr6
	s_cbranch_vccz .LBB35_115
; %bb.114:                              ;   in Loop: Header=BB35_108 Depth=1
	s_add_co_i32 s6, s14, -4
	s_mov_b32 s7, 0
.LBB35_115:                             ;   in Loop: Header=BB35_108 Depth=1
	s_delay_alu instid0(SALU_CYCLE_1)
	s_and_not1_b32 vcc_lo, exec_lo, s7
	s_cbranch_vccnz .LBB35_107
; %bb.116:                              ;   in Loop: Header=BB35_108 Depth=1
	s_add_co_i32 s6, s13, -4
	s_branch .LBB35_107
.LBB35_117:
	s_cmp_lt_i32 s24, 2
	s_mov_b32 s10, 2
	s_cbranch_scc1 .LBB35_126
; %bb.118:
	v_mov_b32_e32 v0, 0
	s_add_nc_u64 s[4:5], s[52:53], s[50:51]
	s_add_nc_u64 s[2:3], s[40:41], 4
	;; [unrolled: 1-line block ×3, first 2 shown]
	s_mov_b32 s11, 1
	s_branch .LBB35_120
.LBB35_119:                             ;   in Loop: Header=BB35_120 Depth=1
	v_mov_b32_e32 v3, s6
	s_add_co_i32 s11, s11, 1
	s_add_co_i32 s10, s10, 1
	s_add_nc_u64 s[2:3], s[2:3], 4
	s_add_nc_u64 s[4:5], s[4:5], 4
	s_cmp_eq_u32 s11, s24
	s_clause 0x1
	global_store_b32 v3, v1, s[36:37] scale_offset
	global_store_b32 v3, v2, s[40:41] scale_offset
	s_cbranch_scc1 .LBB35_126
.LBB35_120:                             ; =>This Loop Header: Depth=1
                                        ;     Child Loop BB35_122 Depth 2
	s_wait_xcnt 0x0
	v_mov_b32_e32 v3, s11
	s_mov_b64 s[6:7], s[4:5]
	s_mov_b64 s[8:9], s[2:3]
	s_mov_b32 s14, s10
	s_clause 0x1
	global_load_b32 v1, v3, s[36:37] scale_offset
	global_load_b32 v2, v3, s[40:41] scale_offset
	s_branch .LBB35_122
.LBB35_121:                             ;   in Loop: Header=BB35_122 Depth=2
	s_and_not1_b32 vcc_lo, exec_lo, s16
	s_wait_xcnt 0x0
	s_add_nc_u64 s[6:7], s[6:7], -4
	s_cbranch_vccz .LBB35_124
.LBB35_122:                             ;   Parent Loop BB35_120 Depth=1
                                        ; =>  This Inner Loop Header: Depth=2
	global_load_b32 v3, v0, s[6:7] offset:-4
	s_mov_b32 s13, s14
	s_mov_b32 s15, -1
	s_mov_b32 s16, -1
                                        ; implicit-def: $sgpr14
	s_wait_loadcnt 0x0
	v_cmp_nlt_f32_e32 vcc_lo, v3, v1
	s_cbranch_vccnz .LBB35_121
; %bb.123:                              ;   in Loop: Header=BB35_122 Depth=2
	global_load_b32 v4, v0, s[8:9] offset:-4
	s_add_co_i32 s14, s13, -1
	s_add_nc_u64 s[18:19], s[8:9], -4
	s_cmp_lt_i32 s14, 2
	s_mov_b32 s15, 0
	s_cselect_b32 s16, -1, 0
	global_store_b32 v0, v3, s[6:7]
	s_wait_loadcnt 0x0
	global_store_b32 v0, v4, s[8:9]
	s_wait_xcnt 0x0
	s_mov_b64 s[8:9], s[18:19]
	s_branch .LBB35_121
.LBB35_124:                             ;   in Loop: Header=BB35_120 Depth=1
	s_and_b32 vcc_lo, exec_lo, s15
	s_mov_b32 s6, 0
	s_cbranch_vccz .LBB35_119
; %bb.125:                              ;   in Loop: Header=BB35_120 Depth=1
	s_add_co_i32 s6, s13, -1
	s_branch .LBB35_119
.LBB35_126:
	s_wait_xcnt 0x0
	s_or_b32 exec_lo, exec_lo, s12
	s_cmp_lt_i32 s24, 2
	s_mov_b32 s58, 0
	s_cselect_b32 s5, -1, 0
	s_wait_storecnt 0x0
	s_and_b32 vcc_lo, exec_lo, s5
	s_barrier_signal -1
	s_barrier_wait -1
	s_cbranch_vccnz .LBB35_134
; %bb.127:
	s_add_co_i32 s4, s24, -1
	s_mov_b32 s5, -1
	s_mov_b32 s2, 0
	s_mov_b32 s3, exec_lo
	v_cmpx_gt_u32_e64 s4, v41
	s_cbranch_execz .LBB35_136
; %bb.128:
	v_dual_mov_b32 v1, 0 :: v_dual_mov_b32 v0, v41
	s_mov_b32 s5, 0
                                        ; implicit-def: $sgpr6
	s_branch .LBB35_130
.LBB35_129:                             ;   in Loop: Header=BB35_130 Depth=1
	s_or_b32 exec_lo, exec_lo, s9
	s_xor_b32 s7, s8, -1
	s_and_b32 s2, exec_lo, s2
	s_delay_alu instid0(SALU_CYCLE_1) | instskip(SKIP_2) | instid1(SALU_CYCLE_1)
	s_or_b32 s5, s2, s5
	s_and_not1_b32 s2, s6, exec_lo
	s_and_b32 s6, s7, exec_lo
	s_or_b32 s6, s2, s6
	s_and_not1_b32 exec_lo, exec_lo, s5
	s_cbranch_execz .LBB35_135
.LBB35_130:                             ; =>This Inner Loop Header: Depth=1
	global_load_b32 v2, v0, s[36:37] scale_offset
	s_mov_b32 s8, exec_lo
	s_wait_loadcnt 0x0
	v_cmp_u_f32_e64 s7, v2, v2
	v_cmpx_o_f32_e32 v2, v2
	s_cbranch_execz .LBB35_132
; %bb.131:                              ;   in Loop: Header=BB35_130 Depth=1
	v_lshl_add_u64 v[4:5], v[0:1], 2, s[36:37]
	s_and_not1_b32 s7, s7, exec_lo
	global_load_b32 v3, v[4:5], off offset:4
	s_wait_loadcnt 0x0
	v_cmp_u_f32_e32 vcc_lo, v3, v3
	v_cmp_ge_f32_e64 s2, v2, v3
	s_or_b32 s2, vcc_lo, s2
	s_delay_alu instid0(SALU_CYCLE_1) | instskip(NEXT) | instid1(SALU_CYCLE_1)
	s_and_b32 s2, s2, exec_lo
	s_or_b32 s7, s7, s2
.LBB35_132:                             ;   in Loop: Header=BB35_130 Depth=1
	s_or_b32 exec_lo, exec_lo, s8
	s_mov_b32 s2, -1
	s_mov_b32 s8, -1
	s_and_saveexec_b32 s9, s7
	s_cbranch_execz .LBB35_129
; %bb.133:                              ;   in Loop: Header=BB35_130 Depth=1
	v_add_nc_u32_e32 v0, s46, v0
	s_xor_b32 s8, exec_lo, -1
	s_delay_alu instid0(VALU_DEP_1)
	v_cmp_le_u32_e32 vcc_lo, s4, v0
	s_or_not1_b32 s2, vcc_lo, exec_lo
	s_branch .LBB35_129
.LBB35_134:
	s_mov_b32 s2, 0
	s_branch .LBB35_137
.LBB35_135:
	s_or_b32 exec_lo, exec_lo, s5
	s_delay_alu instid0(SALU_CYCLE_1)
	s_mov_b32 s2, exec_lo
	s_or_not1_b32 s5, s6, exec_lo
.LBB35_136:
	s_or_b32 exec_lo, exec_lo, s3
.LBB35_137:
	s_and_saveexec_b32 s3, s5
	s_cbranch_execz .LBB35_139
; %bb.138:
	s_mov_b32 s58, exec_lo
	s_barrier_signal -1
	s_barrier_wait -1
	s_and_not1_b32 s2, s2, exec_lo
.LBB35_139:
	s_or_b32 exec_lo, exec_lo, s3
	s_mov_b32 s54, 0
	s_and_saveexec_b32 s59, s2
	s_cbranch_execz .LBB35_141
; %bb.140:
	s_get_pc_i64 s[2:3]
	s_add_nc_u64 s[2:3], s[2:3], __PRETTY_FUNCTION__._ZN9rocsolver6v33100L21shell_sort_descendingIfiEEvT0_PT_PS2_@rel64+4
	s_add_nc_u64 s[8:9], s[0:1], 0x90
	v_dual_mov_b32 v0, s2 :: v_dual_mov_b32 v1, s3
	s_get_pc_i64 s[4:5]
	s_add_nc_u64 s[4:5], s[4:5], __assert_fail@rel64+4
	s_mov_b64 s[54:55], s[0:1]
	s_swap_pc_i64 s[30:31], s[4:5]
	s_mov_b64 s[0:1], s[54:55]
	s_mov_b32 s54, exec_lo
.LBB35_141:
	s_or_b32 exec_lo, exec_lo, s59
.LBB35_142:
	s_wait_xcnt 0x0
	s_and_saveexec_b32 s20, s58
	s_cbranch_execz .LBB35_167
; %bb.143:
	s_and_not1_b32 vcc_lo, exec_lo, s57
	s_wait_storecnt 0x0
	s_barrier_signal -1
	s_barrier_wait -1
	s_cbranch_vccnz .LBB35_166
; %bb.144:
	s_cmp_gt_i32 s25, 0
	v_cmp_eq_u32_e64 s2, 0, v41
	s_cselect_b32 s30, -1, 0
	s_ashr_i32 s9, s47, 31
	s_cmp_gt_i32 s26, 0
	v_cmp_gt_u32_e64 s3, s25, v41
	s_cselect_b32 s31, -1, 0
	v_cmp_gt_u32_e64 s4, s26, v41
	s_ashr_i32 s11, s43, 31
	v_cmp_gt_u32_e64 s5, s27, v41
	v_mov_b32_e32 v1, 0
	s_mov_b32 s7, 0
	s_cmp_gt_i32 s27, 0
	s_mov_b32 s8, s47
	s_mov_b32 s10, s43
	s_cselect_b32 s33, -1, 0
	s_ashr_i32 s13, s49, 31
	s_mov_b32 s12, s49
	s_mov_b32 s6, s7
	s_branch .LBB35_146
.LBB35_145:                             ;   in Loop: Header=BB35_146 Depth=1
	s_add_co_i32 s6, s6, 1
	s_delay_alu instid0(SALU_CYCLE_1)
	s_cmp_eq_u32 s6, s24
	s_cbranch_scc1 .LBB35_166
.LBB35_146:                             ; =>This Loop Header: Depth=1
                                        ;     Child Loop BB35_150 Depth 2
                                        ;       Child Loop BB35_155 Depth 3
                                        ;       Child Loop BB35_160 Depth 3
	;; [unrolled: 1-line block ×3, first 2 shown]
	v_mov_b32_e32 v0, s6
	global_load_b32 v2, v0, s[40:41] scale_offset
	s_wait_loadcnt 0x0
	v_cmp_eq_u32_e32 vcc_lo, s6, v2
	s_cbranch_vccnz .LBB35_145
; %bb.147:                              ;   in Loop: Header=BB35_146 Depth=1
	s_lshl_b64 s[14:15], s[6:7], 2
	s_delay_alu instid0(SALU_CYCLE_1)
	s_add_nc_u64 s[14:15], s[40:41], s[14:15]
	s_branch .LBB35_150
.LBB35_148:                             ;   in Loop: Header=BB35_150 Depth=2
	s_or_b32 exec_lo, exec_lo, s18
	s_wait_storecnt 0x0
	s_barrier_signal -1
	s_barrier_wait -1
.LBB35_149:                             ;   in Loop: Header=BB35_150 Depth=2
	global_load_b32 v2, v1, s[14:15]
	s_wait_loadcnt 0x0
	v_cmp_ne_u32_e32 vcc_lo, s6, v2
	s_cbranch_vccz .LBB35_145
.LBB35_150:                             ;   Parent Loop BB35_146 Depth=1
                                        ; =>  This Loop Header: Depth=2
                                        ;       Child Loop BB35_155 Depth 3
                                        ;       Child Loop BB35_160 Depth 3
	;; [unrolled: 1-line block ×3, first 2 shown]
	global_load_b32 v0, v2, s[40:41] scale_offset
	v_ashrrev_i32_e32 v3, 31, v2
	s_wait_loadcnt 0x0
	s_barrier_signal -1
	s_barrier_wait -1
	v_readfirstlane_b32 s16, v0
	s_wait_xcnt 0x0
	s_and_saveexec_b32 s17, s2
	s_cbranch_execz .LBB35_152
; %bb.151:                              ;   in Loop: Header=BB35_150 Depth=2
	v_lshlrev_b64_e32 v[4:5], 2, v[2:3]
	v_mov_b32_e32 v0, s16
	s_delay_alu instid0(VALU_DEP_2)
	v_add_nc_u64_e32 v[4:5], s[40:41], v[4:5]
	s_clause 0x1
	global_store_b32 v[4:5], v2, off
	global_store_b32 v1, v0, s[14:15]
.LBB35_152:                             ;   in Loop: Header=BB35_150 Depth=2
	s_wait_xcnt 0x0
	s_or_b32 exec_lo, exec_lo, s17
	s_delay_alu instid0(SALU_CYCLE_1)
	s_and_not1_b32 vcc_lo, exec_lo, s30
	s_wait_storecnt 0x0
	s_barrier_signal -1
	s_barrier_wait -1
	s_cbranch_vccnz .LBB35_157
; %bb.153:                              ;   in Loop: Header=BB35_150 Depth=2
	s_and_saveexec_b32 s18, s3
	s_cbranch_execz .LBB35_156
; %bb.154:                              ;   in Loop: Header=BB35_150 Depth=2
	v_mov_b32_e32 v0, v41
	s_ashr_i32 s17, s16, 31
	s_mov_b32 s19, 0
.LBB35_155:                             ;   Parent Loop BB35_146 Depth=1
                                        ;     Parent Loop BB35_150 Depth=2
                                        ; =>    This Inner Loop Header: Depth=3
	s_delay_alu instid0(VALU_DEP_1) | instskip(SKIP_1) | instid1(VALU_DEP_1)
	v_mul_u64_e32 v[4:5], s[8:9], v[0:1]
	v_add_nc_u32_e32 v0, s46, v0
	v_cmp_le_u32_e32 vcc_lo, s25, v0
	s_or_b32 s19, vcc_lo, s19
	s_delay_alu instid0(VALU_DEP_3) | instskip(NEXT) | instid1(VALU_DEP_1)
	v_lshl_add_u64 v[4:5], v[4:5], 3, s[34:35]
	v_lshl_add_u64 v[6:7], s[16:17], 3, v[4:5]
	v_lshl_add_u64 v[4:5], v[2:3], 3, v[4:5]
	s_clause 0x1
	global_load_b64 v[8:9], v[6:7], off
	global_load_b64 v[10:11], v[4:5], off
	s_wait_loadcnt 0x1
	global_store_b64 v[4:5], v[8:9], off
	s_wait_loadcnt 0x0
	global_store_b64 v[6:7], v[10:11], off
	s_wait_xcnt 0x0
	s_and_not1_b32 exec_lo, exec_lo, s19
	s_cbranch_execnz .LBB35_155
.LBB35_156:                             ;   in Loop: Header=BB35_150 Depth=2
	s_or_b32 exec_lo, exec_lo, s18
	s_wait_storecnt 0x0
	s_barrier_signal -1
	s_barrier_wait -1
.LBB35_157:                             ;   in Loop: Header=BB35_150 Depth=2
	s_and_not1_b32 vcc_lo, exec_lo, s31
	s_cbranch_vccnz .LBB35_162
; %bb.158:                              ;   in Loop: Header=BB35_150 Depth=2
	s_and_saveexec_b32 s55, s4
	s_cbranch_execz .LBB35_161
; %bb.159:                              ;   in Loop: Header=BB35_150 Depth=2
	v_mul_u64_e32 v[4:5], s[10:11], v[2:3]
	s_ashr_i32 s17, s16, 31
	v_mov_b32_e32 v0, v41
	s_mul_u64 s[18:19], s[16:17], s[10:11]
	s_mov_b32 s17, 0
	s_lshl_b64 s[18:19], s[18:19], 3
	s_delay_alu instid0(SALU_CYCLE_1) | instskip(NEXT) | instid1(VALU_DEP_2)
	s_add_nc_u64 s[18:19], s[28:29], s[18:19]
	v_lshlrev_b64_e32 v[4:5], 3, v[4:5]
	s_delay_alu instid0(VALU_DEP_1)
	v_add_nc_u64_e32 v[4:5], s[28:29], v[4:5]
.LBB35_160:                             ;   Parent Loop BB35_146 Depth=1
                                        ;     Parent Loop BB35_150 Depth=2
                                        ; =>    This Inner Loop Header: Depth=3
	s_delay_alu instid0(VALU_DEP_1) | instskip(NEXT) | instid1(VALU_DEP_2)
	v_readfirstlane_b32 s56, v4
	v_readfirstlane_b32 s57, v5
	s_clause 0x1
	global_load_b64 v[6:7], v0, s[18:19] scale_offset
	global_load_b64 v[8:9], v0, s[56:57] scale_offset
	s_wait_loadcnt 0x1
	global_store_b64 v0, v[6:7], s[56:57] scale_offset
	s_wait_loadcnt 0x0
	global_store_b64 v0, v[8:9], s[18:19] scale_offset
	s_wait_xcnt 0x0
	v_add_nc_u32_e32 v0, s46, v0
	s_delay_alu instid0(VALU_DEP_1) | instskip(SKIP_1) | instid1(SALU_CYCLE_1)
	v_cmp_le_u32_e32 vcc_lo, s26, v0
	s_or_b32 s17, vcc_lo, s17
	s_and_not1_b32 exec_lo, exec_lo, s17
	s_cbranch_execnz .LBB35_160
.LBB35_161:                             ;   in Loop: Header=BB35_150 Depth=2
	s_or_b32 exec_lo, exec_lo, s55
	s_wait_storecnt 0x0
	s_barrier_signal -1
	s_barrier_wait -1
.LBB35_162:                             ;   in Loop: Header=BB35_150 Depth=2
	s_and_not1_b32 vcc_lo, exec_lo, s33
	s_cbranch_vccnz .LBB35_149
; %bb.163:                              ;   in Loop: Header=BB35_150 Depth=2
	s_and_saveexec_b32 s18, s5
	s_cbranch_execz .LBB35_148
; %bb.164:                              ;   in Loop: Header=BB35_150 Depth=2
	v_mov_b32_e32 v0, v41
	s_ashr_i32 s17, s16, 31
	s_mov_b32 s19, 0
.LBB35_165:                             ;   Parent Loop BB35_146 Depth=1
                                        ;     Parent Loop BB35_150 Depth=2
                                        ; =>    This Inner Loop Header: Depth=3
	s_delay_alu instid0(VALU_DEP_1) | instskip(SKIP_1) | instid1(VALU_DEP_1)
	v_mul_u64_e32 v[4:5], s[12:13], v[0:1]
	v_add_nc_u32_e32 v0, s46, v0
	v_cmp_le_u32_e32 vcc_lo, s27, v0
	s_or_b32 s19, vcc_lo, s19
	s_delay_alu instid0(VALU_DEP_3) | instskip(NEXT) | instid1(VALU_DEP_1)
	v_lshl_add_u64 v[4:5], v[4:5], 3, s[44:45]
	v_lshl_add_u64 v[6:7], s[16:17], 3, v[4:5]
	;; [unrolled: 1-line block ×3, first 2 shown]
	s_clause 0x1
	global_load_b64 v[8:9], v[6:7], off
	global_load_b64 v[10:11], v[4:5], off
	s_wait_loadcnt 0x1
	global_store_b64 v[4:5], v[8:9], off
	s_wait_loadcnt 0x0
	global_store_b64 v[6:7], v[10:11], off
	s_wait_xcnt 0x0
	s_and_not1_b32 exec_lo, exec_lo, s19
	s_cbranch_execnz .LBB35_165
	s_branch .LBB35_148
.LBB35_166:
	s_mov_b32 s56, exec_lo
.LBB35_167:
	s_or_b32 exec_lo, exec_lo, s20
	s_branch .LBB35_279
.LBB35_168:
	s_and_b32 vcc_lo, exec_lo, s48
	s_mov_b32 s56, -1
	s_cbranch_vccz .LBB35_279
; %bb.169:
	v_or3_b32 v0, v43, v44, v42
	s_mov_b32 s8, exec_lo
	s_wait_storecnt 0x0
	s_barrier_signal -1
	s_barrier_wait -1
	s_barrier_signal -1
	s_barrier_wait -1
	s_wait_xcnt 0x0
	v_cmpx_eq_u32_e32 0, v0
	s_cbranch_execz .LBB35_263
; %bb.170:
	s_cmp_lt_u32 s24, 0x2be
	s_cbranch_scc1 .LBB35_182
; %bb.171:
	v_mov_b32_e32 v0, 0
	s_add_nc_u64 s[4:5], s[52:53], s[50:51]
	s_mov_b64 s[2:3], 0xfffffffffffff50c
	s_add_nc_u64 s[4:5], s[4:5], 0xaf4
	s_movk_i32 s9, 0x2bd
	s_movk_i32 s10, 0x57a
	s_branch .LBB35_173
.LBB35_172:                             ;   in Loop: Header=BB35_173 Depth=1
	v_mov_b32_e32 v2, s6
	s_add_co_i32 s9, s9, 1
	s_add_co_i32 s10, s10, 1
	s_cmp_eq_u32 s9, s24
	s_add_nc_u64 s[4:5], s[4:5], 4
	global_store_b32 v2, v1, s[36:37] scale_offset
	s_cbranch_scc1 .LBB35_182
.LBB35_173:                             ; =>This Loop Header: Depth=1
                                        ;     Child Loop BB35_174 Depth 2
	s_wait_xcnt 0x0
	v_mov_b32_e32 v1, s9
	s_mov_b64 s[6:7], s[4:5]
	s_mov_b32 s11, s10
	global_load_b32 v1, v1, s[36:37] scale_offset
.LBB35_174:                             ;   Parent Loop BB35_173 Depth=1
                                        ; =>  This Inner Loop Header: Depth=2
	global_load_b32 v2, v0, s[6:7] offset:-2804
	s_mov_b32 s13, -1
	s_mov_b32 s14, -1
                                        ; implicit-def: $sgpr12
	s_wait_loadcnt 0x0
	v_cmp_nlt_f32_e32 vcc_lo, v2, v1
	s_cbranch_vccnz .LBB35_176
; %bb.175:                              ;   in Loop: Header=BB35_174 Depth=2
	s_add_co_i32 s12, s11, 0xfffffd43
	s_mov_b32 s13, 0
	s_cmp_lt_i32 s12, 0x57a
	global_store_b32 v0, v2, s[6:7]
	s_cselect_b32 s14, -1, 0
.LBB35_176:                             ;   in Loop: Header=BB35_174 Depth=2
	s_delay_alu instid0(SALU_CYCLE_1)
	s_and_not1_b32 vcc_lo, exec_lo, s14
	s_wait_xcnt 0x0
	s_add_nc_u64 s[6:7], s[6:7], s[2:3]
	s_cbranch_vccz .LBB35_178
; %bb.177:                              ;   in Loop: Header=BB35_174 Depth=2
	s_mov_b32 s11, s12
	s_branch .LBB35_174
.LBB35_178:                             ;   in Loop: Header=BB35_173 Depth=1
	s_and_not1_b32 vcc_lo, exec_lo, s13
	s_mov_b32 s7, -1
                                        ; implicit-def: $sgpr6
	s_cbranch_vccz .LBB35_180
; %bb.179:                              ;   in Loop: Header=BB35_173 Depth=1
	s_add_co_i32 s6, s12, 0xfffffd43
	s_mov_b32 s7, 0
.LBB35_180:                             ;   in Loop: Header=BB35_173 Depth=1
	s_delay_alu instid0(SALU_CYCLE_1)
	s_and_not1_b32 vcc_lo, exec_lo, s7
	s_cbranch_vccnz .LBB35_172
; %bb.181:                              ;   in Loop: Header=BB35_173 Depth=1
	s_add_co_i32 s6, s11, 0xfffffd43
	s_branch .LBB35_172
.LBB35_182:
	s_cmp_lt_i32 s24, 0x12e
	s_cbranch_scc1 .LBB35_194
; %bb.183:
	v_mov_b32_e32 v0, 0
	s_add_nc_u64 s[4:5], s[52:53], s[50:51]
	s_mov_b64 s[2:3], 0xfffffffffffffb4c
	s_add_nc_u64 s[4:5], s[4:5], 0x4b4
	s_movk_i32 s9, 0x12d
	s_movk_i32 s10, 0x25a
	s_branch .LBB35_185
.LBB35_184:                             ;   in Loop: Header=BB35_185 Depth=1
	v_mov_b32_e32 v2, s6
	s_add_co_i32 s9, s9, 1
	s_add_co_i32 s10, s10, 1
	s_cmp_lg_u32 s9, s24
	s_add_nc_u64 s[4:5], s[4:5], 4
	global_store_b32 v2, v1, s[36:37] scale_offset
	s_cbranch_scc0 .LBB35_194
.LBB35_185:                             ; =>This Loop Header: Depth=1
                                        ;     Child Loop BB35_186 Depth 2
	s_wait_xcnt 0x0
	v_mov_b32_e32 v1, s9
	s_mov_b64 s[6:7], s[4:5]
	s_mov_b32 s11, s10
	global_load_b32 v1, v1, s[36:37] scale_offset
.LBB35_186:                             ;   Parent Loop BB35_185 Depth=1
                                        ; =>  This Inner Loop Header: Depth=2
	global_load_b32 v2, v0, s[6:7] offset:-1204
	s_mov_b32 s13, -1
	s_mov_b32 s14, -1
                                        ; implicit-def: $sgpr12
	s_wait_loadcnt 0x0
	v_cmp_nlt_f32_e32 vcc_lo, v2, v1
	s_cbranch_vccnz .LBB35_188
; %bb.187:                              ;   in Loop: Header=BB35_186 Depth=2
	s_add_co_i32 s12, s11, 0xfffffed3
	s_mov_b32 s13, 0
	s_cmp_lt_i32 s12, 0x25a
	global_store_b32 v0, v2, s[6:7]
	s_cselect_b32 s14, -1, 0
.LBB35_188:                             ;   in Loop: Header=BB35_186 Depth=2
	s_delay_alu instid0(SALU_CYCLE_1)
	s_and_not1_b32 vcc_lo, exec_lo, s14
	s_wait_xcnt 0x0
	s_add_nc_u64 s[6:7], s[6:7], s[2:3]
	s_cbranch_vccz .LBB35_190
; %bb.189:                              ;   in Loop: Header=BB35_186 Depth=2
	s_mov_b32 s11, s12
	s_branch .LBB35_186
.LBB35_190:                             ;   in Loop: Header=BB35_185 Depth=1
	s_and_not1_b32 vcc_lo, exec_lo, s13
	s_mov_b32 s7, -1
                                        ; implicit-def: $sgpr6
	s_cbranch_vccz .LBB35_192
; %bb.191:                              ;   in Loop: Header=BB35_185 Depth=1
	s_add_co_i32 s6, s12, 0xfffffed3
	s_mov_b32 s7, 0
.LBB35_192:                             ;   in Loop: Header=BB35_185 Depth=1
	s_delay_alu instid0(SALU_CYCLE_1)
	s_and_not1_b32 vcc_lo, exec_lo, s7
	s_cbranch_vccnz .LBB35_184
; %bb.193:                              ;   in Loop: Header=BB35_185 Depth=1
	s_add_co_i32 s6, s11, 0xfffffed3
	s_branch .LBB35_184
.LBB35_194:
	s_cmp_lt_i32 s24, 0x85
	s_cbranch_scc1 .LBB35_206
; %bb.195:
	v_mov_b32_e32 v0, 0
	s_add_nc_u64 s[4:5], s[52:53], s[50:51]
	s_mov_b64 s[2:3], 0xfffffffffffffdf0
	s_add_nc_u64 s[4:5], s[4:5], 0x210
	s_movk_i32 s9, 0x84
	s_movk_i32 s10, 0x108
	s_branch .LBB35_197
.LBB35_196:                             ;   in Loop: Header=BB35_197 Depth=1
	v_mov_b32_e32 v2, s6
	s_add_co_i32 s9, s9, 1
	s_add_co_i32 s10, s10, 1
	s_cmp_lg_u32 s9, s24
	s_add_nc_u64 s[4:5], s[4:5], 4
	global_store_b32 v2, v1, s[36:37] scale_offset
	s_cbranch_scc0 .LBB35_206
.LBB35_197:                             ; =>This Loop Header: Depth=1
                                        ;     Child Loop BB35_198 Depth 2
	s_wait_xcnt 0x0
	v_mov_b32_e32 v1, s9
	s_mov_b64 s[6:7], s[4:5]
	s_mov_b32 s11, s10
	global_load_b32 v1, v1, s[36:37] scale_offset
.LBB35_198:                             ;   Parent Loop BB35_197 Depth=1
                                        ; =>  This Inner Loop Header: Depth=2
	global_load_b32 v2, v0, s[6:7] offset:-528
	s_mov_b32 s13, -1
	s_mov_b32 s14, -1
                                        ; implicit-def: $sgpr12
	s_wait_loadcnt 0x0
	v_cmp_nlt_f32_e32 vcc_lo, v2, v1
	s_cbranch_vccnz .LBB35_200
; %bb.199:                              ;   in Loop: Header=BB35_198 Depth=2
	s_add_co_i32 s12, s11, 0xffffff7c
	s_mov_b32 s13, 0
	s_cmp_lt_i32 s12, 0x108
	global_store_b32 v0, v2, s[6:7]
	s_cselect_b32 s14, -1, 0
.LBB35_200:                             ;   in Loop: Header=BB35_198 Depth=2
	s_delay_alu instid0(SALU_CYCLE_1)
	s_and_not1_b32 vcc_lo, exec_lo, s14
	s_wait_xcnt 0x0
	s_add_nc_u64 s[6:7], s[6:7], s[2:3]
	s_cbranch_vccz .LBB35_202
; %bb.201:                              ;   in Loop: Header=BB35_198 Depth=2
	s_mov_b32 s11, s12
	s_branch .LBB35_198
.LBB35_202:                             ;   in Loop: Header=BB35_197 Depth=1
	s_and_not1_b32 vcc_lo, exec_lo, s13
	s_mov_b32 s7, -1
                                        ; implicit-def: $sgpr6
	s_cbranch_vccz .LBB35_204
; %bb.203:                              ;   in Loop: Header=BB35_197 Depth=1
	s_add_co_i32 s6, s12, 0xffffff7c
	s_mov_b32 s7, 0
.LBB35_204:                             ;   in Loop: Header=BB35_197 Depth=1
	s_delay_alu instid0(SALU_CYCLE_1)
	s_and_not1_b32 vcc_lo, exec_lo, s7
	s_cbranch_vccnz .LBB35_196
; %bb.205:                              ;   in Loop: Header=BB35_197 Depth=1
	s_add_co_i32 s6, s11, 0xffffff7c
	s_branch .LBB35_196
.LBB35_206:
	s_cmp_lt_i32 s24, 58
	s_cbranch_scc1 .LBB35_218
; %bb.207:
	v_mov_b32_e32 v0, 0
	s_add_nc_u64 s[4:5], s[52:53], s[50:51]
	s_mov_b64 s[2:3], 0xffffffffffffff1c
	s_add_nc_u64 s[4:5], s[4:5], 0xe4
	s_mov_b32 s9, 57
	s_movk_i32 s10, 0x72
	s_branch .LBB35_209
.LBB35_208:                             ;   in Loop: Header=BB35_209 Depth=1
	v_mov_b32_e32 v2, s6
	s_add_co_i32 s9, s9, 1
	s_add_co_i32 s10, s10, 1
	s_cmp_lg_u32 s9, s24
	s_add_nc_u64 s[4:5], s[4:5], 4
	global_store_b32 v2, v1, s[36:37] scale_offset
	s_cbranch_scc0 .LBB35_218
.LBB35_209:                             ; =>This Loop Header: Depth=1
                                        ;     Child Loop BB35_210 Depth 2
	s_wait_xcnt 0x0
	v_mov_b32_e32 v1, s9
	s_mov_b64 s[6:7], s[4:5]
	s_mov_b32 s11, s10
	global_load_b32 v1, v1, s[36:37] scale_offset
.LBB35_210:                             ;   Parent Loop BB35_209 Depth=1
                                        ; =>  This Inner Loop Header: Depth=2
	global_load_b32 v2, v0, s[6:7] offset:-228
	s_mov_b32 s13, -1
	s_mov_b32 s14, -1
                                        ; implicit-def: $sgpr12
	s_wait_loadcnt 0x0
	v_cmp_nlt_f32_e32 vcc_lo, v2, v1
	s_cbranch_vccnz .LBB35_212
; %bb.211:                              ;   in Loop: Header=BB35_210 Depth=2
	s_sub_co_i32 s12, s11, 57
	s_mov_b32 s13, 0
	s_cmp_lt_i32 s12, 0x72
	global_store_b32 v0, v2, s[6:7]
	s_cselect_b32 s14, -1, 0
.LBB35_212:                             ;   in Loop: Header=BB35_210 Depth=2
	s_delay_alu instid0(SALU_CYCLE_1)
	s_and_not1_b32 vcc_lo, exec_lo, s14
	s_wait_xcnt 0x0
	s_add_nc_u64 s[6:7], s[6:7], s[2:3]
	s_cbranch_vccz .LBB35_214
; %bb.213:                              ;   in Loop: Header=BB35_210 Depth=2
	s_mov_b32 s11, s12
	s_branch .LBB35_210
.LBB35_214:                             ;   in Loop: Header=BB35_209 Depth=1
	s_and_not1_b32 vcc_lo, exec_lo, s13
	s_mov_b32 s7, -1
                                        ; implicit-def: $sgpr6
	s_cbranch_vccz .LBB35_216
; %bb.215:                              ;   in Loop: Header=BB35_209 Depth=1
	s_sub_co_i32 s6, s12, 57
	s_mov_b32 s7, 0
.LBB35_216:                             ;   in Loop: Header=BB35_209 Depth=1
	s_delay_alu instid0(SALU_CYCLE_1)
	s_and_not1_b32 vcc_lo, exec_lo, s7
	s_cbranch_vccnz .LBB35_208
; %bb.217:                              ;   in Loop: Header=BB35_209 Depth=1
	s_sub_co_i32 s6, s11, 57
	s_branch .LBB35_208
.LBB35_218:
	s_cmp_lt_i32 s24, 24
	s_cbranch_scc1 .LBB35_230
; %bb.219:
	v_mov_b32_e32 v0, 0
	s_add_nc_u64 s[4:5], s[52:53], s[50:51]
	s_mov_b64 s[2:3], 0xffffffffffffffa4
	s_add_nc_u64 s[4:5], s[4:5], 0x5c
	s_mov_b32 s9, 23
	s_mov_b32 s10, 46
	s_branch .LBB35_221
.LBB35_220:                             ;   in Loop: Header=BB35_221 Depth=1
	v_mov_b32_e32 v2, s6
	s_add_co_i32 s9, s9, 1
	s_add_co_i32 s10, s10, 1
	s_cmp_lg_u32 s9, s24
	s_add_nc_u64 s[4:5], s[4:5], 4
	global_store_b32 v2, v1, s[36:37] scale_offset
	s_cbranch_scc0 .LBB35_230
.LBB35_221:                             ; =>This Loop Header: Depth=1
                                        ;     Child Loop BB35_222 Depth 2
	s_wait_xcnt 0x0
	v_mov_b32_e32 v1, s9
	s_mov_b64 s[6:7], s[4:5]
	s_mov_b32 s11, s10
	global_load_b32 v1, v1, s[36:37] scale_offset
.LBB35_222:                             ;   Parent Loop BB35_221 Depth=1
                                        ; =>  This Inner Loop Header: Depth=2
	global_load_b32 v2, v0, s[6:7] offset:-92
	s_mov_b32 s13, -1
	s_mov_b32 s14, -1
                                        ; implicit-def: $sgpr12
	s_wait_loadcnt 0x0
	v_cmp_nlt_f32_e32 vcc_lo, v2, v1
	s_cbranch_vccnz .LBB35_224
; %bb.223:                              ;   in Loop: Header=BB35_222 Depth=2
	s_sub_co_i32 s12, s11, 23
	s_mov_b32 s13, 0
	s_cmp_lt_i32 s12, 46
	global_store_b32 v0, v2, s[6:7]
	s_cselect_b32 s14, -1, 0
.LBB35_224:                             ;   in Loop: Header=BB35_222 Depth=2
	s_delay_alu instid0(SALU_CYCLE_1)
	s_and_not1_b32 vcc_lo, exec_lo, s14
	s_wait_xcnt 0x0
	s_add_nc_u64 s[6:7], s[6:7], s[2:3]
	s_cbranch_vccz .LBB35_226
; %bb.225:                              ;   in Loop: Header=BB35_222 Depth=2
	s_mov_b32 s11, s12
	s_branch .LBB35_222
.LBB35_226:                             ;   in Loop: Header=BB35_221 Depth=1
	s_and_not1_b32 vcc_lo, exec_lo, s13
	s_mov_b32 s7, -1
                                        ; implicit-def: $sgpr6
	s_cbranch_vccz .LBB35_228
; %bb.227:                              ;   in Loop: Header=BB35_221 Depth=1
	s_sub_co_i32 s6, s12, 23
	s_mov_b32 s7, 0
.LBB35_228:                             ;   in Loop: Header=BB35_221 Depth=1
	s_delay_alu instid0(SALU_CYCLE_1)
	s_and_not1_b32 vcc_lo, exec_lo, s7
	s_cbranch_vccnz .LBB35_220
; %bb.229:                              ;   in Loop: Header=BB35_221 Depth=1
	s_sub_co_i32 s6, s11, 23
	s_branch .LBB35_220
.LBB35_230:
	s_cmp_lt_i32 s24, 11
	s_cbranch_scc1 .LBB35_242
; %bb.231:
	v_mov_b32_e32 v0, 0
	s_add_nc_u64 s[4:5], s[52:53], s[50:51]
	s_mov_b64 s[2:3], 0xffffffffffffffd8
	s_add_nc_u64 s[4:5], s[4:5], 40
	s_mov_b32 s9, 10
	s_mov_b32 s10, 20
	s_branch .LBB35_233
.LBB35_232:                             ;   in Loop: Header=BB35_233 Depth=1
	v_mov_b32_e32 v2, s6
	s_add_co_i32 s9, s9, 1
	s_add_co_i32 s10, s10, 1
	s_cmp_lg_u32 s9, s24
	s_add_nc_u64 s[4:5], s[4:5], 4
	global_store_b32 v2, v1, s[36:37] scale_offset
	s_cbranch_scc0 .LBB35_242
.LBB35_233:                             ; =>This Loop Header: Depth=1
                                        ;     Child Loop BB35_234 Depth 2
	s_wait_xcnt 0x0
	v_mov_b32_e32 v1, s9
	s_mov_b64 s[6:7], s[4:5]
	s_mov_b32 s11, s10
	global_load_b32 v1, v1, s[36:37] scale_offset
.LBB35_234:                             ;   Parent Loop BB35_233 Depth=1
                                        ; =>  This Inner Loop Header: Depth=2
	global_load_b32 v2, v0, s[6:7] offset:-40
	s_mov_b32 s13, -1
	s_mov_b32 s14, -1
                                        ; implicit-def: $sgpr12
	s_wait_loadcnt 0x0
	v_cmp_nlt_f32_e32 vcc_lo, v2, v1
	s_cbranch_vccnz .LBB35_236
; %bb.235:                              ;   in Loop: Header=BB35_234 Depth=2
	s_add_co_i32 s12, s11, -10
	s_mov_b32 s13, 0
	s_cmp_lt_i32 s12, 20
	global_store_b32 v0, v2, s[6:7]
	s_cselect_b32 s14, -1, 0
.LBB35_236:                             ;   in Loop: Header=BB35_234 Depth=2
	s_delay_alu instid0(SALU_CYCLE_1)
	s_and_not1_b32 vcc_lo, exec_lo, s14
	s_wait_xcnt 0x0
	s_add_nc_u64 s[6:7], s[6:7], s[2:3]
	s_cbranch_vccz .LBB35_238
; %bb.237:                              ;   in Loop: Header=BB35_234 Depth=2
	s_mov_b32 s11, s12
	s_branch .LBB35_234
.LBB35_238:                             ;   in Loop: Header=BB35_233 Depth=1
	s_and_not1_b32 vcc_lo, exec_lo, s13
	s_mov_b32 s7, -1
                                        ; implicit-def: $sgpr6
	s_cbranch_vccz .LBB35_240
; %bb.239:                              ;   in Loop: Header=BB35_233 Depth=1
	s_add_co_i32 s6, s12, -10
	s_mov_b32 s7, 0
.LBB35_240:                             ;   in Loop: Header=BB35_233 Depth=1
	s_delay_alu instid0(SALU_CYCLE_1)
	s_and_not1_b32 vcc_lo, exec_lo, s7
	s_cbranch_vccnz .LBB35_232
; %bb.241:                              ;   in Loop: Header=BB35_233 Depth=1
	s_add_co_i32 s6, s11, -10
	s_branch .LBB35_232
.LBB35_242:
	s_cmp_lt_i32 s24, 5
	s_cbranch_scc1 .LBB35_254
; %bb.243:
	v_mov_b32_e32 v0, 0
	s_add_nc_u64 s[2:3], s[52:53], s[50:51]
	s_mov_b32 s6, 4
	s_add_nc_u64 s[2:3], s[2:3], 16
	s_mov_b32 s7, 8
	s_branch .LBB35_245
.LBB35_244:                             ;   in Loop: Header=BB35_245 Depth=1
	v_mov_b32_e32 v2, s4
	s_add_co_i32 s6, s6, 1
	s_add_co_i32 s7, s7, 1
	s_cmp_lg_u32 s6, s24
	s_add_nc_u64 s[2:3], s[2:3], 4
	global_store_b32 v2, v1, s[36:37] scale_offset
	s_cbranch_scc0 .LBB35_254
.LBB35_245:                             ; =>This Loop Header: Depth=1
                                        ;     Child Loop BB35_246 Depth 2
	s_wait_xcnt 0x0
	v_mov_b32_e32 v1, s6
	s_mov_b64 s[4:5], s[2:3]
	s_mov_b32 s9, s7
	global_load_b32 v1, v1, s[36:37] scale_offset
.LBB35_246:                             ;   Parent Loop BB35_245 Depth=1
                                        ; =>  This Inner Loop Header: Depth=2
	global_load_b32 v2, v0, s[4:5] offset:-16
	s_mov_b32 s11, -1
	s_mov_b32 s12, -1
                                        ; implicit-def: $sgpr10
	s_wait_loadcnt 0x0
	v_cmp_nlt_f32_e32 vcc_lo, v2, v1
	s_cbranch_vccnz .LBB35_248
; %bb.247:                              ;   in Loop: Header=BB35_246 Depth=2
	s_add_co_i32 s10, s9, -4
	s_mov_b32 s11, 0
	s_cmp_lt_i32 s10, 8
	global_store_b32 v0, v2, s[4:5]
	s_cselect_b32 s12, -1, 0
.LBB35_248:                             ;   in Loop: Header=BB35_246 Depth=2
	s_delay_alu instid0(SALU_CYCLE_1)
	s_and_not1_b32 vcc_lo, exec_lo, s12
	s_wait_xcnt 0x0
	s_add_nc_u64 s[4:5], s[4:5], -16
	s_cbranch_vccz .LBB35_250
; %bb.249:                              ;   in Loop: Header=BB35_246 Depth=2
	s_mov_b32 s9, s10
	s_branch .LBB35_246
.LBB35_250:                             ;   in Loop: Header=BB35_245 Depth=1
	s_and_not1_b32 vcc_lo, exec_lo, s11
	s_mov_b32 s5, -1
                                        ; implicit-def: $sgpr4
	s_cbranch_vccz .LBB35_252
; %bb.251:                              ;   in Loop: Header=BB35_245 Depth=1
	s_add_co_i32 s4, s10, -4
	s_mov_b32 s5, 0
.LBB35_252:                             ;   in Loop: Header=BB35_245 Depth=1
	s_delay_alu instid0(SALU_CYCLE_1)
	s_and_not1_b32 vcc_lo, exec_lo, s5
	s_cbranch_vccnz .LBB35_244
; %bb.253:                              ;   in Loop: Header=BB35_245 Depth=1
	s_add_co_i32 s4, s9, -4
	s_branch .LBB35_244
.LBB35_254:
	s_cmp_lt_i32 s24, 2
	s_mov_b32 s6, 2
	s_cbranch_scc1 .LBB35_263
; %bb.255:
	v_mov_b32_e32 v0, 0
	s_add_nc_u64 s[2:3], s[52:53], s[50:51]
	s_mov_b32 s7, 1
	s_add_nc_u64 s[2:3], s[2:3], 4
	s_branch .LBB35_257
.LBB35_256:                             ;   in Loop: Header=BB35_257 Depth=1
	v_mov_b32_e32 v2, s4
	s_add_co_i32 s7, s7, 1
	s_add_co_i32 s6, s6, 1
	s_cmp_eq_u32 s7, s24
	s_add_nc_u64 s[2:3], s[2:3], 4
	global_store_b32 v2, v1, s[36:37] scale_offset
	s_cbranch_scc1 .LBB35_263
.LBB35_257:                             ; =>This Loop Header: Depth=1
                                        ;     Child Loop BB35_259 Depth 2
	s_wait_xcnt 0x0
	v_mov_b32_e32 v1, s7
	s_mov_b64 s[4:5], s[2:3]
	s_mov_b32 s10, s6
	global_load_b32 v1, v1, s[36:37] scale_offset
	s_branch .LBB35_259
.LBB35_258:                             ;   in Loop: Header=BB35_259 Depth=2
	s_and_not1_b32 vcc_lo, exec_lo, s12
	s_wait_xcnt 0x0
	s_add_nc_u64 s[4:5], s[4:5], -4
	s_cbranch_vccz .LBB35_261
.LBB35_259:                             ;   Parent Loop BB35_257 Depth=1
                                        ; =>  This Inner Loop Header: Depth=2
	global_load_b32 v2, v0, s[4:5] offset:-4
	s_mov_b32 s9, s10
	s_mov_b32 s11, -1
	s_mov_b32 s12, -1
                                        ; implicit-def: $sgpr10
	s_wait_loadcnt 0x0
	v_cmp_nlt_f32_e32 vcc_lo, v2, v1
	s_cbranch_vccnz .LBB35_258
; %bb.260:                              ;   in Loop: Header=BB35_259 Depth=2
	s_add_co_i32 s10, s9, -1
	s_mov_b32 s11, 0
	s_cmp_lt_i32 s10, 2
	global_store_b32 v0, v2, s[4:5]
	s_cselect_b32 s12, -1, 0
	s_branch .LBB35_258
.LBB35_261:                             ;   in Loop: Header=BB35_257 Depth=1
	s_and_b32 vcc_lo, exec_lo, s11
	s_mov_b32 s4, 0
	s_cbranch_vccz .LBB35_256
; %bb.262:                              ;   in Loop: Header=BB35_257 Depth=1
	s_add_co_i32 s4, s9, -1
	s_branch .LBB35_256
.LBB35_263:
	s_wait_xcnt 0x0
	s_or_b32 exec_lo, exec_lo, s8
	s_cmp_lt_i32 s24, 2
	s_mov_b32 s56, 0
	s_cselect_b32 s5, -1, 0
	s_wait_storecnt 0x0
	s_and_b32 vcc_lo, exec_lo, s5
	s_barrier_signal -1
	s_barrier_wait -1
	s_cbranch_vccnz .LBB35_271
; %bb.264:
	s_add_co_i32 s4, s24, -1
	s_mov_b32 s5, -1
	s_mov_b32 s2, 0
	s_mov_b32 s3, exec_lo
	v_cmpx_gt_u32_e64 s4, v41
	s_cbranch_execz .LBB35_273
; %bb.265:
	v_dual_mov_b32 v1, 0 :: v_dual_mov_b32 v0, v41
	s_mov_b32 s5, 0
                                        ; implicit-def: $sgpr6
	s_branch .LBB35_267
.LBB35_266:                             ;   in Loop: Header=BB35_267 Depth=1
	s_or_b32 exec_lo, exec_lo, s9
	s_xor_b32 s7, s8, -1
	s_and_b32 s2, exec_lo, s2
	s_delay_alu instid0(SALU_CYCLE_1) | instskip(SKIP_2) | instid1(SALU_CYCLE_1)
	s_or_b32 s5, s2, s5
	s_and_not1_b32 s2, s6, exec_lo
	s_and_b32 s6, s7, exec_lo
	s_or_b32 s6, s2, s6
	s_and_not1_b32 exec_lo, exec_lo, s5
	s_cbranch_execz .LBB35_272
.LBB35_267:                             ; =>This Inner Loop Header: Depth=1
	global_load_b32 v2, v0, s[36:37] scale_offset
	s_mov_b32 s8, exec_lo
	s_wait_loadcnt 0x0
	v_cmp_u_f32_e64 s7, v2, v2
	v_cmpx_o_f32_e32 v2, v2
	s_cbranch_execz .LBB35_269
; %bb.268:                              ;   in Loop: Header=BB35_267 Depth=1
	v_lshl_add_u64 v[4:5], v[0:1], 2, s[36:37]
	s_and_not1_b32 s7, s7, exec_lo
	global_load_b32 v3, v[4:5], off offset:4
	s_wait_loadcnt 0x0
	v_cmp_u_f32_e32 vcc_lo, v3, v3
	v_cmp_ge_f32_e64 s2, v2, v3
	s_or_b32 s2, vcc_lo, s2
	s_delay_alu instid0(SALU_CYCLE_1) | instskip(NEXT) | instid1(SALU_CYCLE_1)
	s_and_b32 s2, s2, exec_lo
	s_or_b32 s7, s7, s2
.LBB35_269:                             ;   in Loop: Header=BB35_267 Depth=1
	s_or_b32 exec_lo, exec_lo, s8
	s_mov_b32 s2, -1
	s_mov_b32 s8, -1
	s_and_saveexec_b32 s9, s7
	s_cbranch_execz .LBB35_266
; %bb.270:                              ;   in Loop: Header=BB35_267 Depth=1
	v_add_nc_u32_e32 v0, s46, v0
	s_xor_b32 s8, exec_lo, -1
	s_delay_alu instid0(VALU_DEP_1)
	v_cmp_le_u32_e32 vcc_lo, s4, v0
	s_or_not1_b32 s2, vcc_lo, exec_lo
	s_branch .LBB35_266
.LBB35_271:
	s_mov_b32 s2, 0
	s_branch .LBB35_274
.LBB35_272:
	s_or_b32 exec_lo, exec_lo, s5
	s_delay_alu instid0(SALU_CYCLE_1)
	s_mov_b32 s2, exec_lo
	s_or_not1_b32 s5, s6, exec_lo
.LBB35_273:
	s_or_b32 exec_lo, exec_lo, s3
.LBB35_274:
	s_and_saveexec_b32 s3, s5
	s_cbranch_execz .LBB35_276
; %bb.275:
	s_mov_b32 s56, exec_lo
	s_barrier_signal -1
	s_barrier_wait -1
	s_and_not1_b32 s2, s2, exec_lo
.LBB35_276:
	s_or_b32 exec_lo, exec_lo, s3
	s_and_saveexec_b32 s40, s2
	s_cbranch_execz .LBB35_278
; %bb.277:
	s_get_pc_i64 s[2:3]
	s_add_nc_u64 s[2:3], s[2:3], __PRETTY_FUNCTION__._ZN9rocsolver6v33100L21shell_sort_descendingIfiEEvT0_PT_PS2_@rel64+4
	s_add_nc_u64 s[8:9], s[0:1], 0x90
	v_dual_mov_b32 v0, s2 :: v_dual_mov_b32 v1, s3
	s_get_pc_i64 s[0:1]
	s_add_nc_u64 s[0:1], s[0:1], __assert_fail@rel64+4
	s_delay_alu instid0(SALU_CYCLE_1)
	s_swap_pc_i64 s[30:31], s[0:1]
	s_or_b32 s54, s54, exec_lo
.LBB35_278:
	s_or_b32 exec_lo, exec_lo, s40
.LBB35_279:
	s_wait_xcnt 0x0
	s_and_saveexec_b32 s0, s54
; %bb.280:
	; divergent unreachable
; %bb.281:
	s_delay_alu instid0(SALU_CYCLE_1)
	s_or_b32 exec_lo, exec_lo, s0
	s_and_saveexec_b32 s0, s56
	s_cbranch_execz .LBB35_283
; %bb.282:
	s_wait_storecnt 0x0
	s_barrier_signal -1
	s_barrier_wait -1
.LBB35_283:
	s_or_b32 exec_lo, exec_lo, s0
	s_cbranch_execnz .LBB35_307
.LBB35_284:
	s_cmp_lt_i32 s24, 2
	s_cbranch_scc1 .LBB35_307
; %bb.285:
	v_mul_lo_u32 v0, s47, v41
	s_wait_xcnt 0x0
	v_mul_lo_u32 v1, s49, v41
	s_cmp_lg_u32 s25, 0
	v_cmp_eq_u32_e64 s0, 0, v41
	s_cselect_b32 s12, -1, 0
	s_cmp_lg_u32 s26, 0
	v_cmp_gt_i32_e64 s1, s25, v41
	v_cmp_gt_i32_e64 s2, s26, v41
	;; [unrolled: 1-line block ×3, first 2 shown]
	v_mov_b32_e32 v2, 0
	s_cselect_b32 s13, -1, 0
	s_cmp_lg_u32 s27, 0
	s_add_nc_u64 s[6:7], s[52:53], s[50:51]
	s_mov_b32 s5, 0
	s_cselect_b32 s14, -1, 0
	s_add_co_i32 s15, s24, -2
	s_add_nc_u64 s[6:7], s[6:7], 4
	s_mul_i32 s16, s47, s21
	s_mul_i32 s17, s49, s21
	s_mov_b32 s18, 0
	s_mov_b32 s19, 0
	s_branch .LBB35_288
.LBB35_286:                             ;   in Loop: Header=BB35_288 Depth=1
	s_or_b32 exec_lo, exec_lo, s8
	s_wait_storecnt 0x0
	s_barrier_signal -1
	s_barrier_wait -1
.LBB35_287:                             ;   in Loop: Header=BB35_288 Depth=1
	s_add_co_i32 s18, s18, s43
	s_cmp_eq_u32 s4, s15
	s_add_nc_u64 s[6:7], s[6:7], 4
	s_cbranch_scc1 .LBB35_307
.LBB35_288:                             ; =>This Loop Header: Depth=1
                                        ;     Child Loop BB35_289 Depth 2
                                        ;     Child Loop BB35_296 Depth 2
	;; [unrolled: 1-line block ×4, first 2 shown]
	v_mov_b32_e32 v3, s19
	s_mov_b32 s4, s19
	s_add_co_i32 s19, s19, 1
	s_lshl_b64 s[8:9], s[4:5], 2
	s_mov_b64 s[10:11], s[6:7]
	global_load_b32 v4, v3, s[36:37] scale_offset
	s_add_nc_u64 s[8:9], s[36:37], s[8:9]
	s_mov_b32 s20, s19
.LBB35_289:                             ;   Parent Loop BB35_288 Depth=1
                                        ; =>  This Inner Loop Header: Depth=2
	global_load_b32 v5, v2, s[10:11]
	s_wait_xcnt 0x0
	s_add_nc_u64 s[10:11], s[10:11], 4
	s_wait_loadcnt 0x0
	v_cmp_gt_f32_e32 vcc_lo, v5, v4
	v_cndmask_b32_e64 v3, v3, s20, vcc_lo
	v_cndmask_b32_e32 v4, v4, v5, vcc_lo
	s_add_co_i32 s20, s20, 1
	s_delay_alu instid0(SALU_CYCLE_1)
	s_cmp_lg_u32 s24, s20
	s_cbranch_scc1 .LBB35_289
; %bb.290:                              ;   in Loop: Header=BB35_288 Depth=1
	v_cmp_eq_u32_e32 vcc_lo, s4, v3
	s_wait_storecnt 0x0
	s_barrier_signal -1
	s_barrier_wait -1
	s_cbranch_vccnz .LBB35_287
; %bb.291:                              ;   in Loop: Header=BB35_288 Depth=1
	s_and_saveexec_b32 s10, s0
	s_cbranch_execz .LBB35_293
; %bb.292:                              ;   in Loop: Header=BB35_288 Depth=1
	global_load_b32 v5, v2, s[8:9]
	s_wait_loadcnt 0x0
	s_clause 0x1
	global_store_b32 v3, v5, s[36:37] scale_offset
	global_store_b32 v2, v4, s[8:9]
.LBB35_293:                             ;   in Loop: Header=BB35_288 Depth=1
	s_wait_xcnt 0x0
	s_or_b32 exec_lo, exec_lo, s10
	s_delay_alu instid0(SALU_CYCLE_1)
	s_and_not1_b32 vcc_lo, exec_lo, s12
	s_cbranch_vccnz .LBB35_298
; %bb.294:                              ;   in Loop: Header=BB35_288 Depth=1
	s_and_saveexec_b32 s8, s1
	s_cbranch_execz .LBB35_297
; %bb.295:                              ;   in Loop: Header=BB35_288 Depth=1
	v_dual_mov_b32 v4, v0 :: v_dual_mov_b32 v5, v41
	s_mov_b32 s9, 0
.LBB35_296:                             ;   Parent Loop BB35_288 Depth=1
                                        ; =>  This Inner Loop Header: Depth=2
	s_delay_alu instid0(VALU_DEP_1) | instskip(NEXT) | instid1(VALU_DEP_2)
	v_dual_add_nc_u32 v10, s4, v4 :: v_dual_add_nc_u32 v11, v3, v4
	v_dual_add_nc_u32 v5, s21, v5 :: v_dual_add_nc_u32 v4, s16, v4
	s_clause 0x1
	global_load_b64 v[6:7], v10, s[34:35] scale_offset
	global_load_b64 v[8:9], v11, s[34:35] scale_offset
	s_wait_loadcnt 0x1
	global_store_b64 v11, v[6:7], s[34:35] scale_offset
	s_wait_loadcnt 0x0
	global_store_b64 v10, v[8:9], s[34:35] scale_offset
	v_cmp_le_i32_e32 vcc_lo, s25, v5
	s_or_b32 s9, vcc_lo, s9
	s_wait_xcnt 0x0
	s_and_not1_b32 exec_lo, exec_lo, s9
	s_cbranch_execnz .LBB35_296
.LBB35_297:                             ;   in Loop: Header=BB35_288 Depth=1
	s_or_b32 exec_lo, exec_lo, s8
	s_wait_storecnt 0x0
	s_barrier_signal -1
	s_barrier_wait -1
.LBB35_298:                             ;   in Loop: Header=BB35_288 Depth=1
	s_and_not1_b32 vcc_lo, exec_lo, s13
	s_cbranch_vccnz .LBB35_303
; %bb.299:                              ;   in Loop: Header=BB35_288 Depth=1
	s_and_saveexec_b32 s8, s2
	s_cbranch_execz .LBB35_302
; %bb.300:                              ;   in Loop: Header=BB35_288 Depth=1
	v_mul_lo_u32 v4, v3, s43
	v_mov_b32_e32 v5, v41
	s_mov_b32 s9, 0
.LBB35_301:                             ;   Parent Loop BB35_288 Depth=1
                                        ; =>  This Inner Loop Header: Depth=2
	s_delay_alu instid0(VALU_DEP_1)
	v_dual_add_nc_u32 v10, s18, v5 :: v_dual_add_nc_u32 v11, v4, v5
	v_add_nc_u32_e32 v5, s21, v5
	s_clause 0x1
	global_load_b64 v[6:7], v10, s[28:29] scale_offset
	global_load_b64 v[8:9], v11, s[28:29] scale_offset
	s_wait_loadcnt 0x1
	global_store_b64 v11, v[6:7], s[28:29] scale_offset
	s_wait_loadcnt 0x0
	global_store_b64 v10, v[8:9], s[28:29] scale_offset
	v_cmp_le_i32_e32 vcc_lo, s26, v5
	s_or_b32 s9, vcc_lo, s9
	s_wait_xcnt 0x0
	s_and_not1_b32 exec_lo, exec_lo, s9
	s_cbranch_execnz .LBB35_301
.LBB35_302:                             ;   in Loop: Header=BB35_288 Depth=1
	s_or_b32 exec_lo, exec_lo, s8
	s_wait_storecnt 0x0
	s_barrier_signal -1
	s_barrier_wait -1
.LBB35_303:                             ;   in Loop: Header=BB35_288 Depth=1
	s_and_not1_b32 vcc_lo, exec_lo, s14
	s_cbranch_vccnz .LBB35_287
; %bb.304:                              ;   in Loop: Header=BB35_288 Depth=1
	s_and_saveexec_b32 s8, s3
	s_cbranch_execz .LBB35_286
; %bb.305:                              ;   in Loop: Header=BB35_288 Depth=1
	v_dual_mov_b32 v4, v1 :: v_dual_mov_b32 v5, v41
	s_mov_b32 s9, 0
.LBB35_306:                             ;   Parent Loop BB35_288 Depth=1
                                        ; =>  This Inner Loop Header: Depth=2
	s_delay_alu instid0(VALU_DEP_1) | instskip(NEXT) | instid1(VALU_DEP_2)
	v_dual_add_nc_u32 v10, s4, v4 :: v_dual_add_nc_u32 v11, v3, v4
	v_dual_add_nc_u32 v5, s21, v5 :: v_dual_add_nc_u32 v4, s17, v4
	s_clause 0x1
	global_load_b64 v[6:7], v10, s[44:45] scale_offset
	global_load_b64 v[8:9], v11, s[44:45] scale_offset
	s_wait_loadcnt 0x1
	global_store_b64 v11, v[6:7], s[44:45] scale_offset
	s_wait_loadcnt 0x0
	global_store_b64 v10, v[8:9], s[44:45] scale_offset
	v_cmp_le_i32_e32 vcc_lo, s27, v5
	s_or_b32 s9, vcc_lo, s9
	s_wait_xcnt 0x0
	s_and_not1_b32 exec_lo, exec_lo, s9
	s_cbranch_execnz .LBB35_306
	s_branch .LBB35_286
.LBB35_307:
	s_mov_b32 s2, 0
.LBB35_308:
	s_delay_alu instid0(SALU_CYCLE_1)
	s_and_not1_b32 vcc_lo, exec_lo, s2
	s_cbranch_vccnz .LBB35_311
; %bb.309:
	s_mov_b32 s0, exec_lo
	s_wait_xcnt 0x0
	v_cmpx_eq_u32_e32 0, v41
	s_cbranch_execz .LBB35_311
; %bb.310:
	v_dual_mov_b32 v0, 0 :: v_dual_mov_b32 v1, s42
	s_add_nc_u64 s[0:1], s[38:39], s[22:23]
	global_store_b32 v0, v1, s[0:1]
.LBB35_311:
	s_endpgm
	.section	.rodata,"a",@progbits
	.p2align	6, 0x0
	.amdhsa_kernel _ZN9rocsolver6v33100L14bdsqr_finalizeI19rocblas_complex_numIfEfPS3_S4_S4_EEviiiiPT0_lS6_lT1_iilT2_iilT3_iilPiSA_SA_
		.amdhsa_group_segment_fixed_size 0
		.amdhsa_private_segment_fixed_size 64
		.amdhsa_kernarg_size 400
		.amdhsa_user_sgpr_count 2
		.amdhsa_user_sgpr_dispatch_ptr 0
		.amdhsa_user_sgpr_queue_ptr 0
		.amdhsa_user_sgpr_kernarg_segment_ptr 1
		.amdhsa_user_sgpr_dispatch_id 0
		.amdhsa_user_sgpr_kernarg_preload_length 0
		.amdhsa_user_sgpr_kernarg_preload_offset 0
		.amdhsa_user_sgpr_private_segment_size 0
		.amdhsa_wavefront_size32 1
		.amdhsa_uses_dynamic_stack 0
		.amdhsa_enable_private_segment 1
		.amdhsa_system_sgpr_workgroup_id_x 1
		.amdhsa_system_sgpr_workgroup_id_y 1
		.amdhsa_system_sgpr_workgroup_id_z 0
		.amdhsa_system_sgpr_workgroup_info 0
		.amdhsa_system_vgpr_workitem_id 2
		.amdhsa_next_free_vgpr 49
		.amdhsa_next_free_sgpr 60
		.amdhsa_named_barrier_count 0
		.amdhsa_reserve_vcc 1
		.amdhsa_float_round_mode_32 0
		.amdhsa_float_round_mode_16_64 0
		.amdhsa_float_denorm_mode_32 3
		.amdhsa_float_denorm_mode_16_64 3
		.amdhsa_fp16_overflow 0
		.amdhsa_memory_ordered 1
		.amdhsa_forward_progress 1
		.amdhsa_inst_pref_size 63
		.amdhsa_round_robin_scheduling 0
		.amdhsa_exception_fp_ieee_invalid_op 0
		.amdhsa_exception_fp_denorm_src 0
		.amdhsa_exception_fp_ieee_div_zero 0
		.amdhsa_exception_fp_ieee_overflow 0
		.amdhsa_exception_fp_ieee_underflow 0
		.amdhsa_exception_fp_ieee_inexact 0
		.amdhsa_exception_int_div_zero 0
	.end_amdhsa_kernel
	.section	.text._ZN9rocsolver6v33100L14bdsqr_finalizeI19rocblas_complex_numIfEfPS3_S4_S4_EEviiiiPT0_lS6_lT1_iilT2_iilT3_iilPiSA_SA_,"axG",@progbits,_ZN9rocsolver6v33100L14bdsqr_finalizeI19rocblas_complex_numIfEfPS3_S4_S4_EEviiiiPT0_lS6_lT1_iilT2_iilT3_iilPiSA_SA_,comdat
.Lfunc_end35:
	.size	_ZN9rocsolver6v33100L14bdsqr_finalizeI19rocblas_complex_numIfEfPS3_S4_S4_EEviiiiPT0_lS6_lT1_iilT2_iilT3_iilPiSA_SA_, .Lfunc_end35-_ZN9rocsolver6v33100L14bdsqr_finalizeI19rocblas_complex_numIfEfPS3_S4_S4_EEviiiiPT0_lS6_lT1_iilT2_iilT3_iilPiSA_SA_
                                        ; -- End function
	.set _ZN9rocsolver6v33100L14bdsqr_finalizeI19rocblas_complex_numIfEfPS3_S4_S4_EEviiiiPT0_lS6_lT1_iilT2_iilT3_iilPiSA_SA_.num_vgpr, max(45, .L__assert_fail.num_vgpr)
	.set _ZN9rocsolver6v33100L14bdsqr_finalizeI19rocblas_complex_numIfEfPS3_S4_S4_EEviiiiPT0_lS6_lT1_iilT2_iilT3_iilPiSA_SA_.num_agpr, max(0, .L__assert_fail.num_agpr)
	.set _ZN9rocsolver6v33100L14bdsqr_finalizeI19rocblas_complex_numIfEfPS3_S4_S4_EEviiiiPT0_lS6_lT1_iilT2_iilT3_iilPiSA_SA_.numbered_sgpr, max(60, .L__assert_fail.numbered_sgpr)
	.set _ZN9rocsolver6v33100L14bdsqr_finalizeI19rocblas_complex_numIfEfPS3_S4_S4_EEviiiiPT0_lS6_lT1_iilT2_iilT3_iilPiSA_SA_.num_named_barrier, max(0, .L__assert_fail.num_named_barrier)
	.set _ZN9rocsolver6v33100L14bdsqr_finalizeI19rocblas_complex_numIfEfPS3_S4_S4_EEviiiiPT0_lS6_lT1_iilT2_iilT3_iilPiSA_SA_.private_seg_size, 0+max(.L__assert_fail.private_seg_size)
	.set _ZN9rocsolver6v33100L14bdsqr_finalizeI19rocblas_complex_numIfEfPS3_S4_S4_EEviiiiPT0_lS6_lT1_iilT2_iilT3_iilPiSA_SA_.uses_vcc, or(1, .L__assert_fail.uses_vcc)
	.set _ZN9rocsolver6v33100L14bdsqr_finalizeI19rocblas_complex_numIfEfPS3_S4_S4_EEviiiiPT0_lS6_lT1_iilT2_iilT3_iilPiSA_SA_.uses_flat_scratch, or(0, .L__assert_fail.uses_flat_scratch)
	.set _ZN9rocsolver6v33100L14bdsqr_finalizeI19rocblas_complex_numIfEfPS3_S4_S4_EEviiiiPT0_lS6_lT1_iilT2_iilT3_iilPiSA_SA_.has_dyn_sized_stack, or(0, .L__assert_fail.has_dyn_sized_stack)
	.set _ZN9rocsolver6v33100L14bdsqr_finalizeI19rocblas_complex_numIfEfPS3_S4_S4_EEviiiiPT0_lS6_lT1_iilT2_iilT3_iilPiSA_SA_.has_recursion, or(0, .L__assert_fail.has_recursion)
	.set _ZN9rocsolver6v33100L14bdsqr_finalizeI19rocblas_complex_numIfEfPS3_S4_S4_EEviiiiPT0_lS6_lT1_iilT2_iilT3_iilPiSA_SA_.has_indirect_call, or(0, .L__assert_fail.has_indirect_call)
	.section	.AMDGPU.csdata,"",@progbits
; Kernel info:
; codeLenInByte = 8052
; TotalNumSgprs: 62
; NumVgprs: 49
; ScratchSize: 64
; MemoryBound: 0
; FloatMode: 240
; IeeeMode: 1
; LDSByteSize: 0 bytes/workgroup (compile time only)
; SGPRBlocks: 0
; VGPRBlocks: 3
; NumSGPRsForWavesPerEU: 62
; NumVGPRsForWavesPerEU: 49
; NamedBarCnt: 0
; Occupancy: 16
; WaveLimiterHint : 1
; COMPUTE_PGM_RSRC2:SCRATCH_EN: 1
; COMPUTE_PGM_RSRC2:USER_SGPR: 2
; COMPUTE_PGM_RSRC2:TRAP_HANDLER: 0
; COMPUTE_PGM_RSRC2:TGID_X_EN: 1
; COMPUTE_PGM_RSRC2:TGID_Y_EN: 1
; COMPUTE_PGM_RSRC2:TGID_Z_EN: 0
; COMPUTE_PGM_RSRC2:TIDIG_COMP_CNT: 2
	.section	.text._ZN9rocsolver6v33100L10bdsqr_initI19rocblas_complex_numIdEdEEviPT0_lS5_lPiiS4_S4_S6_S5_lS6_,"axG",@progbits,_ZN9rocsolver6v33100L10bdsqr_initI19rocblas_complex_numIdEdEEviPT0_lS5_lPiiS4_S4_S6_S5_lS6_,comdat
	.globl	_ZN9rocsolver6v33100L10bdsqr_initI19rocblas_complex_numIdEdEEviPT0_lS5_lPiiS4_S4_S6_S5_lS6_ ; -- Begin function _ZN9rocsolver6v33100L10bdsqr_initI19rocblas_complex_numIdEdEEviPT0_lS5_lPiiS4_S4_S6_S5_lS6_
	.p2align	8
	.type	_ZN9rocsolver6v33100L10bdsqr_initI19rocblas_complex_numIdEdEEviPT0_lS5_lPiiS4_S4_S6_S5_lS6_,@function
_ZN9rocsolver6v33100L10bdsqr_initI19rocblas_complex_numIdEdEEviPT0_lS5_lPiiS4_S4_S6_S5_lS6_: ; @_ZN9rocsolver6v33100L10bdsqr_initI19rocblas_complex_numIdEdEEviPT0_lS5_lPiiS4_S4_S6_S5_lS6_
; %bb.0:
	s_clause 0x1
	s_load_b32 s2, s[0:1], 0x0
	s_load_b256 s[4:11], s[0:1], 0x8
	s_bfe_u32 s3, ttmp6, 0x40010
	s_bfe_u32 s12, ttmp6, 0x40004
	s_add_co_i32 s3, s3, 1
	s_getreg_b32 s13, hwreg(HW_REG_IB_STS2, 6, 4)
	s_mul_i32 s3, ttmp7, s3
	s_load_b64 s[16:17], s[0:1], 0x28
	s_add_co_i32 s12, s12, s3
	s_wait_kmcnt 0x0
	s_ashr_i32 s3, s2, 31
	s_cmp_eq_u32 s13, 0
	v_cmp_gt_i64_e64 s20, s[2:3], 1
	s_cselect_b32 s14, ttmp7, s12
	s_delay_alu instid0(SALU_CYCLE_1) | instskip(NEXT) | instid1(SALU_CYCLE_1)
	s_ashr_i32 s15, s14, 31
	s_mul_u64 s[6:7], s[6:7], s[14:15]
	s_delay_alu instid0(SALU_CYCLE_1) | instskip(NEXT) | instid1(SALU_CYCLE_1)
	s_lshl_b64 s[6:7], s[6:7], 3
	s_add_nc_u64 s[18:19], s[4:5], s[6:7]
	s_lshl_b64 s[4:5], s[2:3], 3
	v_cmp_lt_i64_e64 s7, s[2:3], 2
	s_add_nc_u64 s[12:13], s[18:19], s[4:5]
	s_mov_b32 s3, 1
	s_add_nc_u64 s[4:5], s[12:13], -8
	s_clause 0x1
	s_load_b64 s[22:23], s[18:19], 0x0
	s_load_b64 s[24:25], s[4:5], 0x0
	s_wait_xcnt 0x0
	s_mul_u64 s[4:5], s[10:11], s[14:15]
	s_delay_alu instid0(SALU_CYCLE_1) | instskip(NEXT) | instid1(SALU_CYCLE_1)
	s_lshl_b64 s[10:11], s[4:5], 3
	s_add_nc_u64 s[8:9], s[8:9], s[10:11]
	s_wait_kmcnt 0x0
	v_cmp_ge_f64_e64 s6, s[22:23], s[24:25]
	s_and_b32 s4, s6, exec_lo
	s_cselect_b32 s5, s23, s25
	s_cselect_b32 s4, s22, s24
	s_bitset0_b32 s5, 31
	s_and_b32 vcc_lo, exec_lo, s7
	v_mov_b64_e32 v[0:1], s[4:5]
	s_cbranch_vccnz .LBB36_3
; %bb.1:
	v_mov_b64_e32 v[0:1], s[4:5]
	v_mov_b64_e32 v[2:3], s[4:5]
	s_add_co_i32 s4, s2, -2
.LBB36_2:                               ; =>This Inner Loop Header: Depth=1
	s_and_b32 s5, s6, exec_lo
	s_cselect_b32 s10, s3, s4
	s_add_co_i32 s5, s3, -1
	s_and_b32 s7, s6, exec_lo
	s_cselect_b32 s22, s5, s4
	s_ashr_i32 s11, s10, 31
	s_ashr_i32 s23, s22, 31
	s_lshl_b64 s[10:11], s[10:11], 3
	s_lshl_b64 s[22:23], s[22:23], 3
	s_add_nc_u64 s[10:11], s[18:19], s[10:11]
	s_add_nc_u64 s[22:23], s[8:9], s[22:23]
	s_load_b64 s[10:11], s[10:11], 0x0
	s_add_co_i32 s3, s3, 1
	s_load_b64 s[22:23], s[22:23], 0x0
	s_add_co_i32 s4, s4, -1
	s_cmp_lg_u32 s3, s2
	s_wait_kmcnt 0x0
	v_add_f64_e64 v[4:5], v[2:3], |s[22:23]|
	s_delay_alu instid0(VALU_DEP_1) | instskip(SKIP_1) | instid1(VALU_DEP_2)
	v_div_scale_f64 v[6:7], null, v[4:5], v[4:5], v[2:3]
	v_div_scale_f64 v[12:13], vcc_lo, v[2:3], v[4:5], v[2:3]
	v_rcp_f64_e32 v[8:9], v[6:7]
	v_nop
	s_delay_alu instid0(TRANS32_DEP_1) | instskip(NEXT) | instid1(VALU_DEP_1)
	v_fma_f64 v[10:11], -v[6:7], v[8:9], 1.0
	v_fmac_f64_e32 v[8:9], v[8:9], v[10:11]
	s_delay_alu instid0(VALU_DEP_1) | instskip(NEXT) | instid1(VALU_DEP_1)
	v_fma_f64 v[10:11], -v[6:7], v[8:9], 1.0
	v_fmac_f64_e32 v[8:9], v[8:9], v[10:11]
	s_delay_alu instid0(VALU_DEP_1) | instskip(NEXT) | instid1(VALU_DEP_1)
	v_mul_f64_e32 v[10:11], v[12:13], v[8:9]
	v_fma_f64 v[6:7], -v[6:7], v[10:11], v[12:13]
	s_delay_alu instid0(VALU_DEP_1) | instskip(NEXT) | instid1(VALU_DEP_1)
	v_div_fmas_f64 v[6:7], v[6:7], v[8:9], v[10:11]
	v_div_fixup_f64 v[2:3], v[6:7], v[4:5], v[2:3]
	s_delay_alu instid0(VALU_DEP_1) | instskip(NEXT) | instid1(VALU_DEP_1)
	v_mul_f64_e64 v[2:3], |s[10:11]|, v[2:3]
	v_cmp_lt_f64_e32 vcc_lo, v[2:3], v[0:1]
	v_dual_cndmask_b32 v1, v1, v3 :: v_dual_cndmask_b32 v0, v0, v2
	s_cbranch_scc1 .LBB36_2
.LBB36_3:
	v_cvt_f64_i32_e32 v[2:3], s2
	s_load_b128 s[4:7], s[0:1], 0x58
	s_lshl_b32 s25, s2, 1
	s_add_co_i32 s3, s2, -1
	s_mul_i32 s10, s25, s14
	s_load_b256 s[36:43], s[0:1], 0x38
	s_ashr_i32 s11, s10, 31
	s_wait_xcnt 0x0
	s_load_b32 s0, s[0:1], 0x30
	s_lshl_b64 s[10:11], s[10:11], 2
	s_mov_b32 s26, 0
	s_mov_b32 s24, 0
	s_wait_kmcnt 0x0
	s_mul_u64 s[4:5], s[4:5], s[14:15]
	s_delay_alu instid0(SALU_CYCLE_1) | instskip(NEXT) | instid1(VALU_DEP_1)
	s_lshl_b64 s[22:23], s[4:5], 3
	v_cmp_gt_f64_e32 vcc_lo, 0x10000000, v[2:3]
	s_and_b32 s4, vcc_lo, exec_lo
	s_cselect_b32 s4, 0x100, 0
	s_delay_alu instid0(SALU_CYCLE_1) | instskip(SKIP_1) | instid1(VALU_DEP_1)
	v_ldexp_f64 v[2:3], v[2:3], s4
	s_cselect_b32 s4, 0xffffff80, 0
	v_rsq_f64_e32 v[4:5], v[2:3]
	v_cmp_class_f64_e64 vcc_lo, v[2:3], 0x260
	s_delay_alu instid0(TRANS32_DEP_1) | instskip(SKIP_1) | instid1(VALU_DEP_1)
	v_mul_f64_e32 v[6:7], v[2:3], v[4:5]
	v_mul_f64_e32 v[4:5], 0.5, v[4:5]
	v_fma_f64 v[8:9], -v[4:5], v[6:7], 0.5
	s_delay_alu instid0(VALU_DEP_1) | instskip(SKIP_1) | instid1(VALU_DEP_2)
	v_fmac_f64_e32 v[6:7], v[6:7], v[8:9]
	v_fmac_f64_e32 v[4:5], v[4:5], v[8:9]
	v_fma_f64 v[8:9], -v[6:7], v[6:7], v[2:3]
	s_delay_alu instid0(VALU_DEP_1) | instskip(NEXT) | instid1(VALU_DEP_1)
	v_fmac_f64_e32 v[6:7], v[8:9], v[4:5]
	v_fma_f64 v[8:9], -v[6:7], v[6:7], v[2:3]
	s_delay_alu instid0(VALU_DEP_1) | instskip(NEXT) | instid1(VALU_DEP_1)
	v_fmac_f64_e32 v[6:7], v[8:9], v[4:5]
	v_ldexp_f64 v[4:5], v[6:7], s4
	v_mul_f64_e32 v[6:7], s[38:39], v[0:1]
	s_add_nc_u64 s[4:5], s[40:41], s[10:11]
	s_mov_b32 s10, 0
	s_delay_alu instid0(VALU_DEP_2) | instskip(NEXT) | instid1(VALU_DEP_1)
	v_dual_cndmask_b32 v3, v5, v3 :: v_dual_cndmask_b32 v2, v4, v2
	v_div_scale_f64 v[4:5], null, v[2:3], v[2:3], v[6:7]
	v_div_scale_f64 v[12:13], vcc_lo, v[6:7], v[2:3], v[6:7]
	s_delay_alu instid0(VALU_DEP_2) | instskip(SKIP_1) | instid1(TRANS32_DEP_1)
	v_rcp_f64_e32 v[8:9], v[4:5]
	v_nop
	v_fma_f64 v[10:11], -v[4:5], v[8:9], 1.0
	s_delay_alu instid0(VALU_DEP_1) | instskip(NEXT) | instid1(VALU_DEP_1)
	v_fmac_f64_e32 v[8:9], v[8:9], v[10:11]
	v_fma_f64 v[10:11], -v[4:5], v[8:9], 1.0
	s_delay_alu instid0(VALU_DEP_1) | instskip(NEXT) | instid1(VALU_DEP_1)
	v_fmac_f64_e32 v[8:9], v[8:9], v[10:11]
	v_mul_f64_e32 v[10:11], v[12:13], v[8:9]
	s_delay_alu instid0(VALU_DEP_1) | instskip(NEXT) | instid1(VALU_DEP_1)
	v_fma_f64 v[4:5], -v[4:5], v[10:11], v[12:13]
	v_div_fmas_f64 v[4:5], v[4:5], v[8:9], v[10:11]
	v_cvt_f64_i32_e32 v[8:9], s0
	v_cndmask_b32_e64 v10, 0, 1, s20
	s_add_nc_u64 s[0:1], s[42:43], s[22:23]
	s_delay_alu instid0(VALU_DEP_3) | instskip(NEXT) | instid1(VALU_DEP_3)
	v_div_fixup_f64 v[2:3], v[4:5], v[2:3], v[6:7]
	v_dual_mul_f64 v[6:7], s[36:37], v[8:9] :: v_dual_mov_b32 v4, 0
	s_delay_alu instid0(VALU_DEP_1)
	v_cmp_lt_f64_e32 vcc_lo, v[2:3], v[6:7]
	v_dual_cndmask_b32 v3, v3, v7 :: v_dual_cndmask_b32 v2, v2, v6
	s_and_not1_b32 vcc_lo, exec_lo, s20
	global_store_b128 v4, v[0:3], s[0:1]
	s_cbranch_vccnz .LBB36_15
; %bb.4:
	s_wait_xcnt 0x0
	v_mov_b64_e32 v[0:1], 0
	s_mov_b32 s21, 0
	s_delay_alu instid0(SALU_CYCLE_1)
	s_mov_b32 s10, s21
	s_mov_b32 s20, s21
	s_branch .LBB36_7
.LBB36_5:                               ;   in Loop: Header=BB36_7 Depth=1
	s_mov_b32 s20, s11
.LBB36_6:                               ;   in Loop: Header=BB36_7 Depth=1
	v_and_b32_e32 v7, 0x7fffffff, v7
	s_wait_loadcnt 0x0
	v_cmp_nlg_f64_e64 s11, 0x7ff00000, |v[8:9]|
	s_delay_alu instid0(VALU_DEP_2) | instskip(SKIP_1) | instid1(SALU_CYCLE_1)
	v_cmp_nlg_f64_e32 vcc_lo, 0x7ff00000, v[6:7]
	s_or_b32 s11, s11, vcc_lo
	s_or_b32 s26, s11, s26
	s_cmp_eq_u32 s20, s3
	s_cbranch_scc1 .LBB36_15
.LBB36_7:                               ; =>This Inner Loop Header: Depth=1
	s_lshl_b32 s22, s20, 2
	s_delay_alu instid0(SALU_CYCLE_1) | instskip(NEXT) | instid1(SALU_CYCLE_1)
	s_or_b32 s11, s22, 3
	s_cmp_ge_i32 s11, s25
	s_cbranch_scc1 .LBB36_9
; %bb.8:                                ;   in Loop: Header=BB36_7 Depth=1
	s_mov_b32 s23, s21
	s_wait_xcnt 0x0
	v_dual_mov_b32 v5, v4 :: v_dual_mov_b32 v6, v4
	v_mov_b32_e32 v7, v4
	s_lshl_b64 s[22:23], s[22:23], 2
	s_delay_alu instid0(SALU_CYCLE_1)
	s_add_nc_u64 s[22:23], s[4:5], s[22:23]
	global_store_b128 v4, v[4:7], s[22:23]
	global_wb scope:SCOPE_DEV
	s_wait_storecnt 0x0
	global_inv scope:SCOPE_DEV
.LBB36_9:                               ;   in Loop: Header=BB36_7 Depth=1
	s_wait_xcnt 0x0
	v_mov_b32_e32 v5, s20
	s_mov_b32 s22, -1
	s_clause 0x1
	global_load_b64 v[6:7], v5, s[8:9] scale_offset
	global_load_b64 v[8:9], v5, s[18:19] scale_offset
	s_wait_loadcnt 0x1
	v_cmp_lt_f64_e64 s11, |v[6:7]|, v[2:3]
	s_and_b32 vcc_lo, exec_lo, s11
                                        ; implicit-def: $sgpr11
	s_cbranch_vccnz .LBB36_11
; %bb.10:                               ;   in Loop: Header=BB36_7 Depth=1
	s_add_co_i32 s11, s20, 1
	s_mov_b32 s22, 0
.LBB36_11:                              ;   in Loop: Header=BB36_7 Depth=1
	s_delay_alu instid0(SALU_CYCLE_1)
	s_and_not1_b32 vcc_lo, exec_lo, s22
	s_cbranch_vccnz .LBB36_5
; %bb.12:                               ;   in Loop: Header=BB36_7 Depth=1
	s_lshl_b64 s[22:23], s[20:21], 3
	s_cmp_ge_i32 s10, s20
	s_add_nc_u64 s[22:23], s[8:9], s[22:23]
	global_store_b64 v4, v[0:1], s[22:23]
	s_cbranch_scc1 .LBB36_14
; %bb.13:                               ;   in Loop: Header=BB36_7 Depth=1
	s_mov_b32 s11, s20
	s_wait_xcnt 0x0
	s_lshl_b32 s22, s24, 2
	v_mov_b64_e32 v[12:13], s[10:11]
	s_ashr_i32 s23, s22, 31
	s_add_co_i32 s24, s24, 1
	s_lshl_b64 s[10:11], s[22:23], 2
	s_delay_alu instid0(SALU_CYCLE_1)
	s_add_nc_u64 s[10:11], s[4:5], s[10:11]
	global_store_b64 v4, v[12:13], s[10:11] offset:4
.LBB36_14:                              ;   in Loop: Header=BB36_7 Depth=1
	s_add_co_i32 s20, s20, 1
	s_wait_xcnt 0x0
	s_mov_b32 s10, s20
	s_branch .LBB36_6
.LBB36_15:
	s_wait_xcnt 0x0
	v_mov_b32_e32 v2, 0
	s_cmp_lt_i32 s10, s3
	global_load_b64 v[0:1], v2, s[12:13] offset:-8
	s_cbranch_scc0 .LBB36_17
; %bb.16:
	s_lshl_b32 s20, s24, 2
	v_dual_mov_b32 v4, s10 :: v_dual_mov_b32 v5, s3
	s_ashr_i32 s21, s20, 31
	s_delay_alu instid0(SALU_CYCLE_1) | instskip(NEXT) | instid1(SALU_CYCLE_1)
	s_lshl_b64 s[10:11], s[20:21], 2
	s_add_nc_u64 s[4:5], s[4:5], s[10:11]
	global_store_b64 v2, v[4:5], s[4:5] offset:4
.LBB36_17:
	s_wait_loadcnt 0x0
	v_cmp_nlg_f64_e64 s4, 0x7ff00000, |v[0:1]|
	s_or_b32 s4, s4, s26
	s_delay_alu instid0(SALU_CYCLE_1)
	s_and_not1_b32 vcc_lo, exec_lo, s4
	s_mov_b32 s4, -1
	s_cbranch_vccz .LBB36_22
; %bb.18:
	s_add_co_i32 s5, s24, 1
	v_mov_b32_e32 v2, 0
	v_cvt_f64_i32_e32 v[0:1], s5
	s_lshl_b64 s[10:11], s[14:15], 2
	s_mov_b32 s4, 0
	s_cmp_lt_i32 s24, 0
	v_mov_b32_e32 v3, v2
	s_add_nc_u64 s[10:11], s[16:17], s[10:11]
	s_clause 0x1
	global_store_b128 v2, v[0:3], s[0:1] offset:16
	global_store_b32 v2, v2, s[10:11]
	s_cbranch_scc1 .LBB36_22
; %bb.19:
	s_wait_xcnt 0x1
	v_mov_b32_e32 v1, 0
	s_mov_b32 s0, 0
.LBB36_20:                              ; =>This Inner Loop Header: Depth=1
	v_mov_b32_e32 v0, s5
	s_wait_xcnt 0x0
	global_atomic_cmpswap_b32 v1, v2, v[0:1], s[6:7] offset:4 th:TH_ATOMIC_RETURN scope:SCOPE_DEV
	s_wait_loadcnt 0x0
	v_cmp_lt_i32_e32 vcc_lo, s24, v1
	s_or_b32 s0, vcc_lo, s0
	s_wait_xcnt 0x0
	s_and_not1_b32 exec_lo, exec_lo, s0
	s_cbranch_execnz .LBB36_20
; %bb.21:
	s_or_b32 exec_lo, exec_lo, s0
.LBB36_22:
	s_delay_alu instid0(SALU_CYCLE_1)
	s_and_not1_b32 vcc_lo, exec_lo, s4
	s_cbranch_vccnz .LBB36_28
; %bb.23:
	v_cmp_ne_u32_e32 vcc_lo, 1, v10
	s_cbranch_vccnz .LBB36_26
; %bb.24:
	s_wait_xcnt 0x1
	v_mov_b64_e32 v[0:1], 0x7ff8000000000000
	s_wait_xcnt 0x0
	v_mov_b32_e32 v2, 0
.LBB36_25:                              ; =>This Inner Loop Header: Depth=1
	s_add_co_i32 s3, s3, -1
	s_clause 0x1
	global_store_b64 v2, v[0:1], s[18:19]
	global_store_b64 v2, v[0:1], s[8:9]
	s_wait_xcnt 0x1
	s_add_nc_u64 s[18:19], s[18:19], 8
	s_cmp_eq_u32 s3, 0
	s_wait_xcnt 0x0
	s_add_nc_u64 s[8:9], s[8:9], 8
	s_cbranch_scc0 .LBB36_25
.LBB36_26:
	s_wait_xcnt 0x1
	s_mov_b32 s0, exec_lo
	s_wait_xcnt 0x0
	v_mov_b64_e32 v[2:3], 0x7ff8000000000000
	v_mbcnt_lo_u32_b32 v1, s0, 0
	v_dual_mov_b32 v0, 0 :: v_dual_mov_b32 v4, s2
	s_lshl_b64 s[4:5], s[14:15], 2
	v_mov_b32_e32 v5, 2
	s_add_nc_u64 s[8:9], s[16:17], s[4:5]
	s_add_nc_u64 s[2:3], s[6:7], s[4:5]
	s_clause 0x2
	global_store_b64 v0, v[2:3], s[12:13] offset:-8
	global_store_b32 v0, v4, s[8:9]
	global_store_b32 v0, v5, s[2:3] offset:8
	s_mov_b32 s1, exec_lo
	s_wait_xcnt 0x0
	v_cmpx_eq_u32_e32 0, v1
	s_cbranch_execz .LBB36_28
; %bb.27:
	s_bcnt1_i32_b32 s0, s0
	s_delay_alu instid0(SALU_CYCLE_1)
	v_mov_b32_e32 v1, s0
	global_atomic_add_u32 v0, v1, s[6:7] scope:SCOPE_DEV
.LBB36_28:
	s_endpgm
	.section	.rodata,"a",@progbits
	.p2align	6, 0x0
	.amdhsa_kernel _ZN9rocsolver6v33100L10bdsqr_initI19rocblas_complex_numIdEdEEviPT0_lS5_lPiiS4_S4_S6_S5_lS6_
		.amdhsa_group_segment_fixed_size 0
		.amdhsa_private_segment_fixed_size 0
		.amdhsa_kernarg_size 104
		.amdhsa_user_sgpr_count 2
		.amdhsa_user_sgpr_dispatch_ptr 0
		.amdhsa_user_sgpr_queue_ptr 0
		.amdhsa_user_sgpr_kernarg_segment_ptr 1
		.amdhsa_user_sgpr_dispatch_id 0
		.amdhsa_user_sgpr_kernarg_preload_length 0
		.amdhsa_user_sgpr_kernarg_preload_offset 0
		.amdhsa_user_sgpr_private_segment_size 0
		.amdhsa_wavefront_size32 1
		.amdhsa_uses_dynamic_stack 0
		.amdhsa_enable_private_segment 0
		.amdhsa_system_sgpr_workgroup_id_x 1
		.amdhsa_system_sgpr_workgroup_id_y 1
		.amdhsa_system_sgpr_workgroup_id_z 0
		.amdhsa_system_sgpr_workgroup_info 0
		.amdhsa_system_vgpr_workitem_id 0
		.amdhsa_next_free_vgpr 14
		.amdhsa_next_free_sgpr 44
		.amdhsa_named_barrier_count 0
		.amdhsa_reserve_vcc 1
		.amdhsa_float_round_mode_32 0
		.amdhsa_float_round_mode_16_64 0
		.amdhsa_float_denorm_mode_32 3
		.amdhsa_float_denorm_mode_16_64 3
		.amdhsa_fp16_overflow 0
		.amdhsa_memory_ordered 1
		.amdhsa_forward_progress 1
		.amdhsa_inst_pref_size 13
		.amdhsa_round_robin_scheduling 0
		.amdhsa_exception_fp_ieee_invalid_op 0
		.amdhsa_exception_fp_denorm_src 0
		.amdhsa_exception_fp_ieee_div_zero 0
		.amdhsa_exception_fp_ieee_overflow 0
		.amdhsa_exception_fp_ieee_underflow 0
		.amdhsa_exception_fp_ieee_inexact 0
		.amdhsa_exception_int_div_zero 0
	.end_amdhsa_kernel
	.section	.text._ZN9rocsolver6v33100L10bdsqr_initI19rocblas_complex_numIdEdEEviPT0_lS5_lPiiS4_S4_S6_S5_lS6_,"axG",@progbits,_ZN9rocsolver6v33100L10bdsqr_initI19rocblas_complex_numIdEdEEviPT0_lS5_lPiiS4_S4_S6_S5_lS6_,comdat
.Lfunc_end36:
	.size	_ZN9rocsolver6v33100L10bdsqr_initI19rocblas_complex_numIdEdEEviPT0_lS5_lPiiS4_S4_S6_S5_lS6_, .Lfunc_end36-_ZN9rocsolver6v33100L10bdsqr_initI19rocblas_complex_numIdEdEEviPT0_lS5_lPiiS4_S4_S6_S5_lS6_
                                        ; -- End function
	.set _ZN9rocsolver6v33100L10bdsqr_initI19rocblas_complex_numIdEdEEviPT0_lS5_lPiiS4_S4_S6_S5_lS6_.num_vgpr, 14
	.set _ZN9rocsolver6v33100L10bdsqr_initI19rocblas_complex_numIdEdEEviPT0_lS5_lPiiS4_S4_S6_S5_lS6_.num_agpr, 0
	.set _ZN9rocsolver6v33100L10bdsqr_initI19rocblas_complex_numIdEdEEviPT0_lS5_lPiiS4_S4_S6_S5_lS6_.numbered_sgpr, 44
	.set _ZN9rocsolver6v33100L10bdsqr_initI19rocblas_complex_numIdEdEEviPT0_lS5_lPiiS4_S4_S6_S5_lS6_.num_named_barrier, 0
	.set _ZN9rocsolver6v33100L10bdsqr_initI19rocblas_complex_numIdEdEEviPT0_lS5_lPiiS4_S4_S6_S5_lS6_.private_seg_size, 0
	.set _ZN9rocsolver6v33100L10bdsqr_initI19rocblas_complex_numIdEdEEviPT0_lS5_lPiiS4_S4_S6_S5_lS6_.uses_vcc, 1
	.set _ZN9rocsolver6v33100L10bdsqr_initI19rocblas_complex_numIdEdEEviPT0_lS5_lPiiS4_S4_S6_S5_lS6_.uses_flat_scratch, 0
	.set _ZN9rocsolver6v33100L10bdsqr_initI19rocblas_complex_numIdEdEEviPT0_lS5_lPiiS4_S4_S6_S5_lS6_.has_dyn_sized_stack, 0
	.set _ZN9rocsolver6v33100L10bdsqr_initI19rocblas_complex_numIdEdEEviPT0_lS5_lPiiS4_S4_S6_S5_lS6_.has_recursion, 0
	.set _ZN9rocsolver6v33100L10bdsqr_initI19rocblas_complex_numIdEdEEviPT0_lS5_lPiiS4_S4_S6_S5_lS6_.has_indirect_call, 0
	.section	.AMDGPU.csdata,"",@progbits
; Kernel info:
; codeLenInByte = 1640
; TotalNumSgprs: 46
; NumVgprs: 14
; ScratchSize: 0
; MemoryBound: 0
; FloatMode: 240
; IeeeMode: 1
; LDSByteSize: 0 bytes/workgroup (compile time only)
; SGPRBlocks: 0
; VGPRBlocks: 0
; NumSGPRsForWavesPerEU: 46
; NumVGPRsForWavesPerEU: 14
; NamedBarCnt: 0
; Occupancy: 16
; WaveLimiterHint : 0
; COMPUTE_PGM_RSRC2:SCRATCH_EN: 0
; COMPUTE_PGM_RSRC2:USER_SGPR: 2
; COMPUTE_PGM_RSRC2:TRAP_HANDLER: 0
; COMPUTE_PGM_RSRC2:TGID_X_EN: 1
; COMPUTE_PGM_RSRC2:TGID_Y_EN: 1
; COMPUTE_PGM_RSRC2:TGID_Z_EN: 0
; COMPUTE_PGM_RSRC2:TIDIG_COMP_CNT: 0
	.section	.text._ZN9rocsolver6v33100L11swap_kernelI19rocblas_complex_numIdEiEEvT0_PT_S4_S6_S4_,"axG",@progbits,_ZN9rocsolver6v33100L11swap_kernelI19rocblas_complex_numIdEiEEvT0_PT_S4_S6_S4_,comdat
	.globl	_ZN9rocsolver6v33100L11swap_kernelI19rocblas_complex_numIdEiEEvT0_PT_S4_S6_S4_ ; -- Begin function _ZN9rocsolver6v33100L11swap_kernelI19rocblas_complex_numIdEiEEvT0_PT_S4_S6_S4_
	.p2align	8
	.type	_ZN9rocsolver6v33100L11swap_kernelI19rocblas_complex_numIdEiEEvT0_PT_S4_S6_S4_,@function
_ZN9rocsolver6v33100L11swap_kernelI19rocblas_complex_numIdEiEEvT0_PT_S4_S6_S4_: ; @_ZN9rocsolver6v33100L11swap_kernelI19rocblas_complex_numIdEiEEvT0_PT_S4_S6_S4_
; %bb.0:
	s_load_b32 s12, s[2:3], 0x0
	s_wait_kmcnt 0x0
	s_cmp_lt_i32 s12, 1
	s_cbranch_scc1 .LBB37_10
; %bb.1:
	s_load_b64 s[14:15], s[0:1], 0x4
	s_clause 0x3
	s_load_b32 s7, s[2:3], 0x34
	s_load_b96 s[4:6], s[2:3], 0x8
	s_load_b32 s11, s[2:3], 0x28
	s_load_b96 s[8:10], s[2:3], 0x18
	s_wait_xcnt 0x0
	s_bfe_u32 s0, ttmp6, 0x4000c
	s_and_b32 s1, ttmp6, 15
	s_add_co_i32 s0, s0, 1
	s_getreg_b32 s2, hwreg(HW_REG_IB_STS2, 6, 4)
	s_mul_i32 s0, ttmp9, s0
	v_and_b32_e32 v1, 0x3ff, v0
	s_add_co_i32 s1, s1, s0
	v_bfe_u32 v3, v0, 10, 10
	v_bfe_u32 v0, v0, 20, 10
	s_wait_kmcnt 0x0
	s_lshr_b32 s0, s14, 16
	s_and_b32 s3, s7, 0xffff
	s_cmp_eq_u32 s2, 0
	s_mul_i32 s0, s0, s15
	s_cselect_b32 s1, ttmp9, s1
	v_mul_lo_u32 v4, s0, v1
	v_mad_u32 v2, s1, s3, v1
	s_cmp_eq_u32 s6, 1
	v_mul_u32_u24_e32 v1, s15, v3
	s_cselect_b32 s0, -1, 0
	s_cmp_eq_u32 s10, 1
	s_mul_i32 s2, s11, s3
	s_cselect_b32 s1, -1, 0
	s_delay_alu instid0(SALU_CYCLE_1) | instskip(NEXT) | instid1(VALU_DEP_3)
	s_and_b32 s1, s0, s1
	v_add3_u32 v6, v4, v1, v0
	s_delay_alu instid0(VALU_DEP_3)
	v_cmp_gt_i32_e64 s0, s12, v2
	s_and_b32 vcc_lo, exec_lo, s1
	s_mov_b32 s1, -1
	s_cbranch_vccnz .LBB37_6
; %bb.2:
	s_and_saveexec_b32 s1, s0
	s_cbranch_execz .LBB37_5
; %bb.3:
	v_dual_ashrrev_i32 v3, 31, v2 :: v_dual_mov_b32 v7, v2
	s_ashr_i32 s7, s6, 31
	s_ashr_i32 s11, s10, 31
	;; [unrolled: 1-line block ×3, first 2 shown]
	s_delay_alu instid0(VALU_DEP_1)
	v_mul_u64_e32 v[0:1], s[10:11], v[2:3]
	v_mul_u64_e32 v[4:5], s[6:7], v[2:3]
	v_lshlrev_b32_e32 v3, 4, v6
	s_mul_u64 s[10:11], s[10:11], s[2:3]
	s_mul_u64 s[14:15], s[6:7], s[2:3]
	s_lshl_b64 s[6:7], s[10:11], 4
	s_lshl_b64 s[10:11], s[14:15], 4
	s_mov_b32 s3, 0
	s_delay_alu instid0(VALU_DEP_3) | instskip(NEXT) | instid1(VALU_DEP_3)
	v_lshl_add_u64 v[0:1], v[0:1], 4, s[8:9]
	v_lshl_add_u64 v[4:5], v[4:5], 4, s[4:5]
.LBB37_4:                               ; =>This Inner Loop Header: Depth=1
	global_load_b128 v[8:11], v[4:5], off
	global_load_b128 v[12:15], v[0:1], off
	v_add_nc_u32_e32 v7, s2, v7
	s_wait_loadcnt 0x1
	global_store_b128 v[0:1], v[8:11], off
	s_wait_loadcnt 0x0
	global_store_b128 v[4:5], v[12:15], off
	v_cmp_le_i32_e32 vcc_lo, s12, v7
	s_wait_xcnt 0x1
	v_add_nc_u64_e32 v[0:1], s[6:7], v[0:1]
	s_wait_xcnt 0x0
	v_add_nc_u64_e32 v[4:5], s[10:11], v[4:5]
	ds_store_2addr_b64 v3, v[12:13], v[14:15] offset1:1
	s_or_b32 s3, vcc_lo, s3
	s_delay_alu instid0(SALU_CYCLE_1)
	s_and_not1_b32 exec_lo, exec_lo, s3
	s_cbranch_execnz .LBB37_4
.LBB37_5:
	s_or_b32 exec_lo, exec_lo, s1
	s_mov_b32 s1, 0
.LBB37_6:
	s_delay_alu instid0(SALU_CYCLE_1)
	s_and_not1_b32 vcc_lo, exec_lo, s1
	s_cbranch_vccnz .LBB37_10
; %bb.7:
	s_and_saveexec_b32 s1, s0
	s_cbranch_execz .LBB37_10
; %bb.8:
	v_ashrrev_i32_e32 v3, 31, v2
	s_ashr_i32 s3, s2, 31
	s_delay_alu instid0(SALU_CYCLE_1) | instskip(SKIP_1) | instid1(VALU_DEP_1)
	s_lshl_b64 s[0:1], s[2:3], 4
	s_mov_b32 s3, 0
	v_lshlrev_b64_e32 v[0:1], 4, v[2:3]
	v_lshl_add_u32 v3, v6, 4, 0x4000
.LBB37_9:                               ; =>This Inner Loop Header: Depth=1
	s_delay_alu instid0(VALU_DEP_2)
	v_add_nc_u64_e32 v[12:13], s[8:9], v[0:1]
	v_add_nc_u64_e32 v[14:15], s[4:5], v[0:1]
	v_add_nc_u32_e32 v2, s2, v2
	v_add_nc_u64_e32 v[0:1], s[0:1], v[0:1]
	global_load_b128 v[4:7], v[12:13], off
	global_load_b128 v[8:11], v[14:15], off
	v_cmp_le_i32_e32 vcc_lo, s12, v2
	s_or_b32 s3, vcc_lo, s3
	s_wait_loadcnt 0x1
	ds_store_2addr_b64 v3, v[4:5], v[6:7] offset1:1
	s_wait_loadcnt 0x0
	global_store_b128 v[12:13], v[8:11], off
	global_store_b128 v[14:15], v[4:7], off
	s_wait_xcnt 0x0
	s_and_not1_b32 exec_lo, exec_lo, s3
	s_cbranch_execnz .LBB37_9
.LBB37_10:
	s_endpgm
	.section	.rodata,"a",@progbits
	.p2align	6, 0x0
	.amdhsa_kernel _ZN9rocsolver6v33100L11swap_kernelI19rocblas_complex_numIdEiEEvT0_PT_S4_S6_S4_
		.amdhsa_group_segment_fixed_size 32768
		.amdhsa_private_segment_fixed_size 0
		.amdhsa_kernarg_size 296
		.amdhsa_user_sgpr_count 4
		.amdhsa_user_sgpr_dispatch_ptr 1
		.amdhsa_user_sgpr_queue_ptr 0
		.amdhsa_user_sgpr_kernarg_segment_ptr 1
		.amdhsa_user_sgpr_dispatch_id 0
		.amdhsa_user_sgpr_kernarg_preload_length 0
		.amdhsa_user_sgpr_kernarg_preload_offset 0
		.amdhsa_user_sgpr_private_segment_size 0
		.amdhsa_wavefront_size32 1
		.amdhsa_uses_dynamic_stack 0
		.amdhsa_enable_private_segment 0
		.amdhsa_system_sgpr_workgroup_id_x 1
		.amdhsa_system_sgpr_workgroup_id_y 0
		.amdhsa_system_sgpr_workgroup_id_z 0
		.amdhsa_system_sgpr_workgroup_info 0
		.amdhsa_system_vgpr_workitem_id 2
		.amdhsa_next_free_vgpr 16
		.amdhsa_next_free_sgpr 16
		.amdhsa_named_barrier_count 0
		.amdhsa_reserve_vcc 1
		.amdhsa_float_round_mode_32 0
		.amdhsa_float_round_mode_16_64 0
		.amdhsa_float_denorm_mode_32 3
		.amdhsa_float_denorm_mode_16_64 3
		.amdhsa_fp16_overflow 0
		.amdhsa_memory_ordered 1
		.amdhsa_forward_progress 1
		.amdhsa_inst_pref_size 5
		.amdhsa_round_robin_scheduling 0
		.amdhsa_exception_fp_ieee_invalid_op 0
		.amdhsa_exception_fp_denorm_src 0
		.amdhsa_exception_fp_ieee_div_zero 0
		.amdhsa_exception_fp_ieee_overflow 0
		.amdhsa_exception_fp_ieee_underflow 0
		.amdhsa_exception_fp_ieee_inexact 0
		.amdhsa_exception_int_div_zero 0
	.end_amdhsa_kernel
	.section	.text._ZN9rocsolver6v33100L11swap_kernelI19rocblas_complex_numIdEiEEvT0_PT_S4_S6_S4_,"axG",@progbits,_ZN9rocsolver6v33100L11swap_kernelI19rocblas_complex_numIdEiEEvT0_PT_S4_S6_S4_,comdat
.Lfunc_end37:
	.size	_ZN9rocsolver6v33100L11swap_kernelI19rocblas_complex_numIdEiEEvT0_PT_S4_S6_S4_, .Lfunc_end37-_ZN9rocsolver6v33100L11swap_kernelI19rocblas_complex_numIdEiEEvT0_PT_S4_S6_S4_
                                        ; -- End function
	.set _ZN9rocsolver6v33100L11swap_kernelI19rocblas_complex_numIdEiEEvT0_PT_S4_S6_S4_.num_vgpr, 16
	.set _ZN9rocsolver6v33100L11swap_kernelI19rocblas_complex_numIdEiEEvT0_PT_S4_S6_S4_.num_agpr, 0
	.set _ZN9rocsolver6v33100L11swap_kernelI19rocblas_complex_numIdEiEEvT0_PT_S4_S6_S4_.numbered_sgpr, 16
	.set _ZN9rocsolver6v33100L11swap_kernelI19rocblas_complex_numIdEiEEvT0_PT_S4_S6_S4_.num_named_barrier, 0
	.set _ZN9rocsolver6v33100L11swap_kernelI19rocblas_complex_numIdEiEEvT0_PT_S4_S6_S4_.private_seg_size, 0
	.set _ZN9rocsolver6v33100L11swap_kernelI19rocblas_complex_numIdEiEEvT0_PT_S4_S6_S4_.uses_vcc, 1
	.set _ZN9rocsolver6v33100L11swap_kernelI19rocblas_complex_numIdEiEEvT0_PT_S4_S6_S4_.uses_flat_scratch, 0
	.set _ZN9rocsolver6v33100L11swap_kernelI19rocblas_complex_numIdEiEEvT0_PT_S4_S6_S4_.has_dyn_sized_stack, 0
	.set _ZN9rocsolver6v33100L11swap_kernelI19rocblas_complex_numIdEiEEvT0_PT_S4_S6_S4_.has_recursion, 0
	.set _ZN9rocsolver6v33100L11swap_kernelI19rocblas_complex_numIdEiEEvT0_PT_S4_S6_S4_.has_indirect_call, 0
	.section	.AMDGPU.csdata,"",@progbits
; Kernel info:
; codeLenInByte = 592
; TotalNumSgprs: 18
; NumVgprs: 16
; ScratchSize: 0
; MemoryBound: 0
; FloatMode: 240
; IeeeMode: 1
; LDSByteSize: 32768 bytes/workgroup (compile time only)
; SGPRBlocks: 0
; VGPRBlocks: 0
; NumSGPRsForWavesPerEU: 18
; NumVGPRsForWavesPerEU: 16
; NamedBarCnt: 0
; Occupancy: 16
; WaveLimiterHint : 0
; COMPUTE_PGM_RSRC2:SCRATCH_EN: 0
; COMPUTE_PGM_RSRC2:USER_SGPR: 4
; COMPUTE_PGM_RSRC2:TRAP_HANDLER: 0
; COMPUTE_PGM_RSRC2:TGID_X_EN: 1
; COMPUTE_PGM_RSRC2:TGID_Y_EN: 0
; COMPUTE_PGM_RSRC2:TGID_Z_EN: 0
; COMPUTE_PGM_RSRC2:TIDIG_COMP_CNT: 2
	.section	.text._ZN9rocsolver6v33100L10rot_kernelId19rocblas_complex_numIdEiEEvT1_PT0_S4_S6_S4_T_S7_,"axG",@progbits,_ZN9rocsolver6v33100L10rot_kernelId19rocblas_complex_numIdEiEEvT1_PT0_S4_S6_S4_T_S7_,comdat
	.globl	_ZN9rocsolver6v33100L10rot_kernelId19rocblas_complex_numIdEiEEvT1_PT0_S4_S6_S4_T_S7_ ; -- Begin function _ZN9rocsolver6v33100L10rot_kernelId19rocblas_complex_numIdEiEEvT1_PT0_S4_S6_S4_T_S7_
	.p2align	8
	.type	_ZN9rocsolver6v33100L10rot_kernelId19rocblas_complex_numIdEiEEvT1_PT0_S4_S6_S4_T_S7_,@function
_ZN9rocsolver6v33100L10rot_kernelId19rocblas_complex_numIdEiEEvT1_PT0_S4_S6_S4_T_S7_: ; @_ZN9rocsolver6v33100L10rot_kernelId19rocblas_complex_numIdEiEEvT1_PT0_S4_S6_S4_T_S7_
; %bb.0:
	s_load_b32 s16, s[0:1], 0x0
	s_wait_kmcnt 0x0
	s_cmp_lt_i32 s16, 1
	s_cbranch_scc1 .LBB38_10
; %bb.1:
	s_clause 0x2
	s_load_b32 s2, s[0:1], 0x44
	s_load_b96 s[8:10], s[0:1], 0x8
	s_load_b96 s[12:14], s[0:1], 0x18
	s_bfe_u32 s3, ttmp6, 0x4000c
	s_and_b32 s4, ttmp6, 15
	s_add_co_i32 s3, s3, 1
	s_load_b32 s11, s[0:1], 0x38
	s_mul_i32 s3, ttmp9, s3
	s_getreg_b32 s5, hwreg(HW_REG_IB_STS2, 6, 4)
	s_add_co_i32 s3, s4, s3
	s_wait_kmcnt 0x0
	s_and_b32 s2, s2, 0xffff
	s_cmp_eq_u32 s5, 0
	s_load_b128 s[4:7], s[0:1], 0x28
	s_wait_xcnt 0x0
	s_cselect_b32 s0, ttmp9, s3
	s_cmp_eq_u32 s10, 1
	v_mad_u32 v0, s0, s2, v0
	s_cselect_b32 s0, -1, 0
	s_cmp_eq_u32 s14, 1
	s_mul_i32 s2, s11, s2
	s_cselect_b32 s1, -1, 0
	s_delay_alu instid0(SALU_CYCLE_1) | instskip(NEXT) | instid1(SALU_CYCLE_1)
	s_and_b32 s1, s0, s1
	s_and_b32 vcc_lo, exec_lo, s1
	s_mov_b32 s1, -1
	s_delay_alu instid0(VALU_DEP_1)
	v_cmp_gt_i32_e64 s0, s16, v0
	s_cbranch_vccnz .LBB38_6
; %bb.2:
	s_and_saveexec_b32 s1, s0
	s_cbranch_execz .LBB38_5
; %bb.3:
	v_ashrrev_i32_e32 v1, 31, v0
	s_ashr_i32 s11, s10, 31
	s_ashr_i32 s15, s14, 31
	s_ashr_i32 s3, s2, 31
	s_delay_alu instid0(SALU_CYCLE_1)
	s_mul_u64 s[18:19], s[10:11], s[2:3]
	v_mul_u64_e32 v[2:3], s[14:15], v[0:1]
	v_mul_u64_e32 v[4:5], s[10:11], v[0:1]
	v_mov_b32_e32 v1, v0
	s_mul_u64 s[14:15], s[14:15], s[2:3]
	s_mov_b32 s3, 0
	s_lshl_b64 s[10:11], s[14:15], 4
	s_lshl_b64 s[14:15], s[18:19], 4
	s_delay_alu instid0(VALU_DEP_3) | instskip(NEXT) | instid1(VALU_DEP_3)
	v_lshl_add_u64 v[2:3], v[2:3], 4, s[12:13]
	v_lshl_add_u64 v[4:5], v[4:5], 4, s[8:9]
	s_delay_alu instid0(VALU_DEP_2) | instskip(NEXT) | instid1(VALU_DEP_2)
	v_add_nc_u64_e32 v[2:3], 8, v[2:3]
	v_add_nc_u64_e32 v[4:5], 8, v[4:5]
.LBB38_4:                               ; =>This Inner Loop Header: Depth=1
	global_load_b128 v[6:9], v[2:3], off offset:-8
	global_load_b128 v[10:13], v[4:5], off offset:-8
	v_add_nc_u32_e32 v1, s2, v1
	s_delay_alu instid0(VALU_DEP_1)
	v_cmp_le_i32_e32 vcc_lo, s16, v1
	s_or_b32 s3, vcc_lo, s3
	s_wait_loadcnt 0x1
	s_wait_kmcnt 0x0
	v_mul_f64_e32 v[14:15], s[6:7], v[6:7]
	s_wait_loadcnt 0x0
	v_mul_f64_e32 v[18:19], s[6:7], v[10:11]
	v_mul_f64_e32 v[20:21], s[6:7], v[12:13]
	;; [unrolled: 1-line block ×3, first 2 shown]
	s_delay_alu instid0(VALU_DEP_4) | instskip(NEXT) | instid1(VALU_DEP_4)
	v_fmac_f64_e32 v[14:15], s[4:5], v[10:11]
	v_fma_f64 v[6:7], s[4:5], v[6:7], -v[18:19]
	s_delay_alu instid0(VALU_DEP_4) | instskip(NEXT) | instid1(VALU_DEP_4)
	v_fma_f64 v[8:9], s[4:5], v[8:9], -v[20:21]
	v_fmac_f64_e32 v[16:17], s[4:5], v[12:13]
	global_store_b128 v[2:3], v[6:9], off offset:-8
	global_store_b128 v[4:5], v[14:17], off offset:-8
	s_wait_xcnt 0x1
	v_add_nc_u64_e32 v[2:3], s[10:11], v[2:3]
	s_wait_xcnt 0x0
	v_add_nc_u64_e32 v[4:5], s[14:15], v[4:5]
	s_and_not1_b32 exec_lo, exec_lo, s3
	s_cbranch_execnz .LBB38_4
.LBB38_5:
	s_or_b32 exec_lo, exec_lo, s1
	s_mov_b32 s1, 0
.LBB38_6:
	s_delay_alu instid0(SALU_CYCLE_1)
	s_and_not1_b32 vcc_lo, exec_lo, s1
	s_cbranch_vccnz .LBB38_10
; %bb.7:
	s_and_saveexec_b32 s1, s0
	s_cbranch_execz .LBB38_10
; %bb.8:
	v_ashrrev_i32_e32 v1, 31, v0
	s_ashr_i32 s3, s2, 31
	s_delay_alu instid0(SALU_CYCLE_1) | instskip(SKIP_1) | instid1(VALU_DEP_1)
	s_lshl_b64 s[0:1], s[2:3], 4
	s_mov_b32 s3, 0
	v_lshlrev_b64_e32 v[2:3], 4, v[0:1]
.LBB38_9:                               ; =>This Inner Loop Header: Depth=1
	s_delay_alu instid0(VALU_DEP_1)
	v_add_nc_u64_e32 v[16:17], s[12:13], v[2:3]
	v_add_nc_u64_e32 v[18:19], s[8:9], v[2:3]
	;; [unrolled: 1-line block ×3, first 2 shown]
	global_load_b128 v[4:7], v[16:17], off
	global_load_b128 v[8:11], v[18:19], off
	v_add_nc_u32_e32 v0, s2, v0
	s_delay_alu instid0(VALU_DEP_1)
	v_cmp_le_i32_e32 vcc_lo, s16, v0
	s_or_b32 s3, vcc_lo, s3
	s_wait_loadcnt 0x1
	s_wait_kmcnt 0x0
	v_mul_f64_e32 v[12:13], s[6:7], v[4:5]
	s_wait_loadcnt 0x0
	v_mul_f64_e32 v[20:21], s[6:7], v[8:9]
	v_mul_f64_e32 v[22:23], s[6:7], v[10:11]
	;; [unrolled: 1-line block ×3, first 2 shown]
	s_delay_alu instid0(VALU_DEP_4) | instskip(NEXT) | instid1(VALU_DEP_4)
	v_fmac_f64_e32 v[12:13], s[4:5], v[8:9]
	v_fma_f64 v[4:5], s[4:5], v[4:5], -v[20:21]
	s_delay_alu instid0(VALU_DEP_4) | instskip(NEXT) | instid1(VALU_DEP_4)
	v_fma_f64 v[6:7], s[4:5], v[6:7], -v[22:23]
	v_fmac_f64_e32 v[14:15], s[4:5], v[10:11]
	global_store_b128 v[16:17], v[4:7], off
	global_store_b128 v[18:19], v[12:15], off
	s_wait_xcnt 0x0
	s_and_not1_b32 exec_lo, exec_lo, s3
	s_cbranch_execnz .LBB38_9
.LBB38_10:
	s_endpgm
	.section	.rodata,"a",@progbits
	.p2align	6, 0x0
	.amdhsa_kernel _ZN9rocsolver6v33100L10rot_kernelId19rocblas_complex_numIdEiEEvT1_PT0_S4_S6_S4_T_S7_
		.amdhsa_group_segment_fixed_size 0
		.amdhsa_private_segment_fixed_size 0
		.amdhsa_kernarg_size 312
		.amdhsa_user_sgpr_count 2
		.amdhsa_user_sgpr_dispatch_ptr 0
		.amdhsa_user_sgpr_queue_ptr 0
		.amdhsa_user_sgpr_kernarg_segment_ptr 1
		.amdhsa_user_sgpr_dispatch_id 0
		.amdhsa_user_sgpr_kernarg_preload_length 0
		.amdhsa_user_sgpr_kernarg_preload_offset 0
		.amdhsa_user_sgpr_private_segment_size 0
		.amdhsa_wavefront_size32 1
		.amdhsa_uses_dynamic_stack 0
		.amdhsa_enable_private_segment 0
		.amdhsa_system_sgpr_workgroup_id_x 1
		.amdhsa_system_sgpr_workgroup_id_y 0
		.amdhsa_system_sgpr_workgroup_id_z 0
		.amdhsa_system_sgpr_workgroup_info 0
		.amdhsa_system_vgpr_workitem_id 0
		.amdhsa_next_free_vgpr 24
		.amdhsa_next_free_sgpr 20
		.amdhsa_named_barrier_count 0
		.amdhsa_reserve_vcc 1
		.amdhsa_float_round_mode_32 0
		.amdhsa_float_round_mode_16_64 0
		.amdhsa_float_denorm_mode_32 3
		.amdhsa_float_denorm_mode_16_64 3
		.amdhsa_fp16_overflow 0
		.amdhsa_memory_ordered 1
		.amdhsa_forward_progress 1
		.amdhsa_inst_pref_size 5
		.amdhsa_round_robin_scheduling 0
		.amdhsa_exception_fp_ieee_invalid_op 0
		.amdhsa_exception_fp_denorm_src 0
		.amdhsa_exception_fp_ieee_div_zero 0
		.amdhsa_exception_fp_ieee_overflow 0
		.amdhsa_exception_fp_ieee_underflow 0
		.amdhsa_exception_fp_ieee_inexact 0
		.amdhsa_exception_int_div_zero 0
	.end_amdhsa_kernel
	.section	.text._ZN9rocsolver6v33100L10rot_kernelId19rocblas_complex_numIdEiEEvT1_PT0_S4_S6_S4_T_S7_,"axG",@progbits,_ZN9rocsolver6v33100L10rot_kernelId19rocblas_complex_numIdEiEEvT1_PT0_S4_S6_S4_T_S7_,comdat
.Lfunc_end38:
	.size	_ZN9rocsolver6v33100L10rot_kernelId19rocblas_complex_numIdEiEEvT1_PT0_S4_S6_S4_T_S7_, .Lfunc_end38-_ZN9rocsolver6v33100L10rot_kernelId19rocblas_complex_numIdEiEEvT1_PT0_S4_S6_S4_T_S7_
                                        ; -- End function
	.set _ZN9rocsolver6v33100L10rot_kernelId19rocblas_complex_numIdEiEEvT1_PT0_S4_S6_S4_T_S7_.num_vgpr, 24
	.set _ZN9rocsolver6v33100L10rot_kernelId19rocblas_complex_numIdEiEEvT1_PT0_S4_S6_S4_T_S7_.num_agpr, 0
	.set _ZN9rocsolver6v33100L10rot_kernelId19rocblas_complex_numIdEiEEvT1_PT0_S4_S6_S4_T_S7_.numbered_sgpr, 20
	.set _ZN9rocsolver6v33100L10rot_kernelId19rocblas_complex_numIdEiEEvT1_PT0_S4_S6_S4_T_S7_.num_named_barrier, 0
	.set _ZN9rocsolver6v33100L10rot_kernelId19rocblas_complex_numIdEiEEvT1_PT0_S4_S6_S4_T_S7_.private_seg_size, 0
	.set _ZN9rocsolver6v33100L10rot_kernelId19rocblas_complex_numIdEiEEvT1_PT0_S4_S6_S4_T_S7_.uses_vcc, 1
	.set _ZN9rocsolver6v33100L10rot_kernelId19rocblas_complex_numIdEiEEvT1_PT0_S4_S6_S4_T_S7_.uses_flat_scratch, 0
	.set _ZN9rocsolver6v33100L10rot_kernelId19rocblas_complex_numIdEiEEvT1_PT0_S4_S6_S4_T_S7_.has_dyn_sized_stack, 0
	.set _ZN9rocsolver6v33100L10rot_kernelId19rocblas_complex_numIdEiEEvT1_PT0_S4_S6_S4_T_S7_.has_recursion, 0
	.set _ZN9rocsolver6v33100L10rot_kernelId19rocblas_complex_numIdEiEEvT1_PT0_S4_S6_S4_T_S7_.has_indirect_call, 0
	.section	.AMDGPU.csdata,"",@progbits
; Kernel info:
; codeLenInByte = 624
; TotalNumSgprs: 22
; NumVgprs: 24
; ScratchSize: 0
; MemoryBound: 0
; FloatMode: 240
; IeeeMode: 1
; LDSByteSize: 0 bytes/workgroup (compile time only)
; SGPRBlocks: 0
; VGPRBlocks: 1
; NumSGPRsForWavesPerEU: 22
; NumVGPRsForWavesPerEU: 24
; NamedBarCnt: 0
; Occupancy: 16
; WaveLimiterHint : 0
; COMPUTE_PGM_RSRC2:SCRATCH_EN: 0
; COMPUTE_PGM_RSRC2:USER_SGPR: 2
; COMPUTE_PGM_RSRC2:TRAP_HANDLER: 0
; COMPUTE_PGM_RSRC2:TGID_X_EN: 1
; COMPUTE_PGM_RSRC2:TGID_Y_EN: 0
; COMPUTE_PGM_RSRC2:TGID_Z_EN: 0
; COMPUTE_PGM_RSRC2:TIDIG_COMP_CNT: 0
	.section	.text._ZN9rocsolver6v33100L11lasr_kernelI19rocblas_complex_numIdEdPS3_iEEv13rocblas_side_14rocblas_pivot_15rocblas_direct_T2_S8_PT0_lSA_lT1_lS8_lS8_,"axG",@progbits,_ZN9rocsolver6v33100L11lasr_kernelI19rocblas_complex_numIdEdPS3_iEEv13rocblas_side_14rocblas_pivot_15rocblas_direct_T2_S8_PT0_lSA_lT1_lS8_lS8_,comdat
	.globl	_ZN9rocsolver6v33100L11lasr_kernelI19rocblas_complex_numIdEdPS3_iEEv13rocblas_side_14rocblas_pivot_15rocblas_direct_T2_S8_PT0_lSA_lT1_lS8_lS8_ ; -- Begin function _ZN9rocsolver6v33100L11lasr_kernelI19rocblas_complex_numIdEdPS3_iEEv13rocblas_side_14rocblas_pivot_15rocblas_direct_T2_S8_PT0_lSA_lT1_lS8_lS8_
	.p2align	8
	.type	_ZN9rocsolver6v33100L11lasr_kernelI19rocblas_complex_numIdEdPS3_iEEv13rocblas_side_14rocblas_pivot_15rocblas_direct_T2_S8_PT0_lSA_lT1_lS8_lS8_,@function
_ZN9rocsolver6v33100L11lasr_kernelI19rocblas_complex_numIdEdPS3_iEEv13rocblas_side_14rocblas_pivot_15rocblas_direct_T2_S8_PT0_lSA_lT1_lS8_lS8_: ; @_ZN9rocsolver6v33100L11lasr_kernelI19rocblas_complex_numIdEdPS3_iEEv13rocblas_side_14rocblas_pivot_15rocblas_direct_T2_S8_PT0_lSA_lT1_lS8_lS8_
; %bb.0:
	s_load_b32 s33, s[0:1], 0x58
	s_bfe_u32 s2, ttmp6, 0x40014
	s_lshr_b32 s3, ttmp7, 16
	s_add_co_i32 s2, s2, 1
	s_bfe_u32 s5, ttmp6, 0x40008
	s_mul_i32 s2, s3, s2
	s_getreg_b32 s4, hwreg(HW_REG_IB_STS2, 6, 4)
	s_add_co_i32 s5, s5, s2
	s_cmp_eq_u32 s4, 0
	s_cselect_b32 s2, s3, s5
	s_mov_b32 s3, 0
	s_wait_kmcnt 0x0
	s_cmp_ge_u32 s2, s33
	s_cbranch_scc1 .LBB39_108
; %bb.1:
	s_clause 0x3
	s_load_b32 s20, s[0:1], 0x48
	s_load_b64 s[22:23], s[0:1], 0x68
	s_load_b128 s[16:19], s[0:1], 0x38
	s_load_b128 s[12:15], s[0:1], 0x0
	s_bfe_u32 s5, ttmp6, 0x4000c
	s_and_b32 s6, ttmp6, 15
	s_add_co_i32 s5, s5, 1
	s_load_b32 s24, s[0:1], 0x60
	s_mul_i32 s5, ttmp9, s5
	s_mov_b32 s51, s3
	s_add_co_i32 s6, s6, s5
	s_wait_kmcnt 0x0
	s_ashr_i32 s21, s20, 31
	s_and_b32 s25, s23, 0xffff
	s_cmp_eq_u32 s4, 0
	s_load_b32 s23, s[0:1], 0x10
	s_cselect_b32 s26, ttmp9, s6
	s_lshl_b64 s[48:49], s[18:19], 4
	v_mad_u32 v4, s26, s25, v0
	s_cmp_eq_u32 s12, 0x8d
	s_load_b64 s[18:19], s[0:1], 0x50
	s_cselect_b32 s27, -1, 0
	s_cmp_eq_u32 s12, 0x8e
	s_load_b256 s[4:11], s[0:1], 0x18
	s_cselect_b32 s28, -1, 0
	s_cmp_eq_u32 s13, 0x119
	s_mul_i32 s12, s24, s25
	s_cselect_b32 s29, -1, 0
	s_cmp_eq_u32 s13, 0x11b
	v_ashrrev_i32_e32 v5, 31, v4
	s_wait_xcnt 0x0
	s_cselect_b32 s0, -1, 0
	s_cmp_eq_u32 s13, 0x11a
	s_add_nc_u64 s[24:25], s[16:17], s[48:49]
	s_cselect_b32 s1, -1, 0
	s_cmp_eq_u32 s14, 0xab
	v_mul_u64_e32 v[2:3], s[20:21], v[4:5]
	s_cselect_b32 s13, -1, 0
	s_cmp_eq_u32 s14, 0xac
	v_lshlrev_b64_e32 v[0:1], 4, v[4:5]
	s_cselect_b32 s26, -1, 0
	s_and_b32 s14, s27, s29
	s_and_b32 s30, s27, s1
	s_and_b32 s31, s14, s13
	s_and_b32 s27, s27, s0
	s_and_b32 s34, s14, s26
	s_xor_b32 s14, s31, -1
	s_and_b32 s31, s27, s13
	s_and_b32 s29, s28, s29
	;; [unrolled: 1-line block ×4, first 2 shown]
	s_xor_b32 s80, s27, -1
	s_and_b32 s27, s29, s26
	s_and_b32 s30, s30, s26
	s_xor_b32 s82, s27, -1
	s_and_b32 s27, s28, s0
	v_cmp_gt_i32_e64 s0, s15, v4
	s_and_b32 s1, s28, s1
	s_xor_b32 s78, s30, -1
	s_and_b32 s30, s29, s13
	s_and_b32 s29, s1, s13
	;; [unrolled: 1-line block ×4, first 2 shown]
	s_xor_b32 s84, s1, -1
	s_and_b32 s1, s26, s0
	s_wait_kmcnt 0x0
	s_add_co_i32 s26, s23, -1
	s_xor_b32 s76, s34, -1
	s_xor_b32 s77, s35, -1
	s_xor_b32 s79, s31, -1
	s_xor_b32 s81, s30, -1
	s_xor_b32 s83, s29, -1
	s_xor_b32 s85, s13, -1
	s_and_b32 s86, s27, s1
	s_ashr_i32 s27, s26, 31
	s_add_co_i32 s34, s23, -2
	s_cmp_gt_i32 s23, 1
	s_mul_u64 s[28:29], s[20:21], s[26:27]
	s_mov_b32 s27, s3
	s_cselect_b32 s87, -1, 0
	s_ashr_i32 s31, s15, 31
	s_add_co_i32 s50, s15, -2
	s_cmp_gt_i32 s15, 1
	s_mul_u64 s[40:41], s[20:21], s[26:27]
	s_mov_b32 s35, s3
	s_cselect_b32 s88, -1, 0
	s_lshl_b64 s[40:41], s[40:41], 4
	s_mul_u64 s[36:37], s[20:21], s[34:35]
	s_add_nc_u64 s[40:41], s[40:41], s[48:49]
	s_lshl_b64 s[36:37], s[36:37], 4
	s_add_nc_u64 s[42:43], s[16:17], s[40:41]
	s_lshl_b64 s[40:41], s[20:21], 4
	s_add_nc_u64 s[36:37], s[36:37], s[48:49]
	s_add_nc_u64 s[46:47], s[48:49], s[40:41]
	;; [unrolled: 1-line block ×4, first 2 shown]
	v_lshl_add_u64 v[2:3], v[2:3], 4, s[48:49]
	v_add_nc_u64_e32 v[6:7], s[36:37], v[0:1]
	v_add_nc_u64_e32 v[10:11], s[24:25], v[0:1]
	;; [unrolled: 1-line block ×4, first 2 shown]
	s_add_co_i32 s46, s15, -1
	s_lshl_b64 s[48:49], s[50:51], 4
	s_mov_b32 s47, s3
	s_add_nc_u64 s[48:49], s[16:17], s[48:49]
	s_lshl_b64 s[52:53], s[46:47], 4
	v_add_nc_u64_e32 v[14:15], s[48:49], v[2:3]
	s_add_nc_u64 s[48:49], s[16:17], s[52:53]
	v_add_nc_u64_e32 v[26:27], s[16:17], v[2:3]
	v_add_nc_u64_e32 v[2:3], s[48:49], v[2:3]
	;; [unrolled: 1-line block ×11, first 2 shown]
	s_ashr_i32 s13, s12, 31
	v_cmp_gt_i32_e64 s1, s23, v4
	v_mov_b32_e32 v5, 0
	s_lshl_b64 s[38:39], s[34:35], 3
	s_lshl_b64 s[48:49], s[50:51], 3
	s_mul_u64 s[50:51], s[20:21], s[12:13]
	s_mov_b32 s30, s15
	s_add_nc_u64 s[34:35], s[4:5], s[38:39]
	s_lshl_b64 s[6:7], s[6:7], 3
	s_add_nc_u64 s[36:37], s[8:9], s[38:39]
	s_lshl_b64 s[10:11], s[10:11], 3
	s_lshl_b64 s[38:39], s[18:19], 4
	;; [unrolled: 1-line block ×3, first 2 shown]
	s_sub_nc_u64 s[44:45], 0, s[40:41]
	s_add_co_i32 s27, s23, 1
	s_add_nc_u64 s[16:17], s[4:5], s[48:49]
	s_add_nc_u64 s[48:49], s[8:9], s[48:49]
	s_lshl_b64 s[50:51], s[50:51], 4
	s_add_co_i32 s13, s15, 1
	s_branch .LBB39_4
.LBB39_2:                               ;   in Loop: Header=BB39_4 Depth=1
	s_or_b32 exec_lo, exec_lo, s47
.LBB39_3:                               ;   in Loop: Header=BB39_4 Depth=1
	s_add_co_i32 s2, s2, s22
	s_delay_alu instid0(SALU_CYCLE_1)
	s_cmp_ge_u32 s2, s33
	s_cbranch_scc1 .LBB39_108
.LBB39_4:                               ; =>This Loop Header: Depth=1
                                        ;     Child Loop BB39_19 Depth 2
                                        ;       Child Loop BB39_20 Depth 3
                                        ;     Child Loop BB39_26 Depth 2
                                        ;       Child Loop BB39_27 Depth 3
	;; [unrolled: 2-line block ×12, first 2 shown]
	s_mul_u64 s[56:57], s[18:19], s[2:3]
	s_mul_u64 s[66:67], s[10:11], s[2:3]
	;; [unrolled: 1-line block ×3, first 2 shown]
	s_lshl_b64 s[56:57], s[56:57], 4
	s_add_nc_u64 s[52:53], s[8:9], s[66:67]
	s_add_nc_u64 s[54:55], s[4:5], s[64:65]
	s_mul_u64 s[58:59], s[38:39], s[2:3]
	s_add_nc_u64 s[56:57], s[24:25], s[56:57]
	s_and_b32 vcc_lo, exec_lo, s14
	s_mov_b32 s47, -1
	s_cbranch_vccnz .LBB39_6
; %bb.5:                                ;   in Loop: Header=BB39_4 Depth=1
	s_and_not1_b32 vcc_lo, exec_lo, s47
	s_cbranch_vccnz .LBB39_3
	s_branch .LBB39_103
.LBB39_6:                               ;   in Loop: Header=BB39_4 Depth=1
	s_add_nc_u64 s[60:61], s[16:17], s[64:65]
	s_add_nc_u64 s[62:63], s[48:49], s[66:67]
	s_and_b32 vcc_lo, exec_lo, s76
	s_cbranch_vccz .LBB39_95
; %bb.7:                                ;   in Loop: Header=BB39_4 Depth=1
	s_and_b32 vcc_lo, exec_lo, s77
	s_cbranch_vccz .LBB39_87
; %bb.8:                                ;   in Loop: Header=BB39_4 Depth=1
	;; [unrolled: 3-line block ×3, first 2 shown]
	s_and_b32 vcc_lo, exec_lo, s79
	s_cbranch_vccz .LBB39_71
; %bb.10:                               ;   in Loop: Header=BB39_4 Depth=1
	s_and_b32 vcc_lo, exec_lo, s80
	s_cbranch_vccz .LBB39_63
; %bb.11:                               ;   in Loop: Header=BB39_4 Depth=1
	v_add_nc_u64_e32 v[28:29], s[58:59], v[10:11]
	s_and_b32 vcc_lo, exec_lo, s81
	s_cbranch_vccz .LBB39_55
; %bb.12:                               ;   in Loop: Header=BB39_4 Depth=1
	v_add_nc_u64_e32 v[30:31], s[58:59], v[12:13]
	s_add_nc_u64 s[64:65], s[34:35], s[64:65]
	s_add_nc_u64 s[66:67], s[36:37], s[66:67]
	s_and_b32 vcc_lo, exec_lo, s82
	s_cbranch_vccz .LBB39_46
; %bb.13:                               ;   in Loop: Header=BB39_4 Depth=1
	s_and_b32 vcc_lo, exec_lo, s83
	s_cbranch_vccz .LBB39_38
; %bb.14:                               ;   in Loop: Header=BB39_4 Depth=1
	;; [unrolled: 3-line block ×4, first 2 shown]
	s_and_saveexec_b32 s47, s86
	s_cbranch_execz .LBB39_21
; %bb.17:                               ;   in Loop: Header=BB39_4 Depth=1
	v_add_nc_u64_e32 v[32:33], s[58:59], v[8:9]
	v_mov_b32_e32 v34, v4
	s_lshl_b64 s[68:69], s[28:29], 4
	s_mov_b32 s74, 0
	s_add_nc_u64 s[68:69], s[56:57], s[68:69]
	s_branch .LBB39_19
.LBB39_18:                              ;   in Loop: Header=BB39_19 Depth=2
	v_ashrrev_i32_e32 v35, 31, v34
	v_add_nc_u64_e32 v[32:33], s[42:43], v[32:33]
	s_delay_alu instid0(VALU_DEP_2)
	v_lshl_add_u64 v[36:37], v[34:35], 4, s[68:69]
	s_wait_xcnt 0x0
	v_add_nc_u32_e32 v34, s12, v34
	s_wait_loadcnt 0x0
	global_store_b128 v[36:37], v[0:3], off
	v_cmp_le_i32_e32 vcc_lo, s15, v34
	s_or_b32 s74, vcc_lo, s74
	s_wait_xcnt 0x0
	s_and_not1_b32 exec_lo, exec_lo, s74
	s_cbranch_execz .LBB39_21
.LBB39_19:                              ;   Parent Loop BB39_4 Depth=1
                                        ; =>  This Loop Header: Depth=2
                                        ;       Child Loop BB39_20 Depth 3
	global_load_b128 v[0:3], v34, s[68:69] scale_offset
	v_mov_b64_e32 v[36:37], v[32:33]
	s_and_not1_b32 vcc_lo, exec_lo, s87
	s_mov_b64 s[70:71], s[66:67]
	s_mov_b64 s[72:73], s[64:65]
	s_mov_b32 s75, s26
	s_cbranch_vccnz .LBB39_18
.LBB39_20:                              ;   Parent Loop BB39_4 Depth=1
                                        ;     Parent Loop BB39_19 Depth=2
                                        ; =>    This Inner Loop Header: Depth=3
	global_load_b128 v[38:41], v[36:37], off offset:-8
	s_clause 0x1
	global_load_b64 v[46:47], v5, s[72:73]
	global_load_b64 v[48:49], v5, s[70:71]
	s_add_co_i32 s75, s75, -1
	s_wait_xcnt 0x1
	s_add_nc_u64 s[72:73], s[72:73], -8
	s_cmp_eq_u32 s75, 0
	s_wait_xcnt 0x0
	s_add_nc_u64 s[70:71], s[70:71], -8
	s_wait_loadcnt 0x1
	v_mul_f64_e32 v[42:43], v[46:47], v[38:39]
	v_mul_f64_e32 v[44:45], v[46:47], v[40:41]
	s_wait_loadcnt 0x0
	v_mul_f64_e32 v[38:39], v[48:49], v[38:39]
	v_mul_f64_e32 v[40:41], v[48:49], v[40:41]
	s_delay_alu instid0(VALU_DEP_4) | instskip(NEXT) | instid1(VALU_DEP_4)
	v_fmac_f64_e32 v[42:43], v[0:1], v[48:49]
	v_fmac_f64_e32 v[44:45], v[2:3], v[48:49]
	s_delay_alu instid0(VALU_DEP_4) | instskip(NEXT) | instid1(VALU_DEP_4)
	v_fma_f64 v[0:1], v[0:1], v[46:47], -v[38:39]
	v_fma_f64 v[2:3], v[2:3], v[46:47], -v[40:41]
	global_store_b128 v[36:37], v[42:45], off offset:-8
	s_wait_xcnt 0x0
	v_add_nc_u64_e32 v[36:37], s[44:45], v[36:37]
	s_cbranch_scc0 .LBB39_20
	s_branch .LBB39_18
.LBB39_21:                              ;   in Loop: Header=BB39_4 Depth=1
	s_or_b32 exec_lo, exec_lo, s47
	s_mov_b32 s47, 0
.LBB39_22:                              ;   in Loop: Header=BB39_4 Depth=1
	s_delay_alu instid0(SALU_CYCLE_1)
	s_and_not1_b32 vcc_lo, exec_lo, s47
	s_cbranch_vccnz .LBB39_29
; %bb.23:                               ;   in Loop: Header=BB39_4 Depth=1
	s_and_saveexec_b32 s47, s0
	s_cbranch_execz .LBB39_28
; %bb.24:                               ;   in Loop: Header=BB39_4 Depth=1
	v_mov_b64_e32 v[32:33], v[28:29]
	v_mov_b32_e32 v34, v4
	s_lshl_b64 s[68:69], s[28:29], 4
	s_mov_b32 s74, 0
	s_add_nc_u64 s[68:69], s[56:57], s[68:69]
	s_branch .LBB39_26
.LBB39_25:                              ;   in Loop: Header=BB39_26 Depth=2
	v_ashrrev_i32_e32 v35, 31, v34
	v_add_nc_u64_e32 v[32:33], s[42:43], v[32:33]
	s_delay_alu instid0(VALU_DEP_2)
	v_lshl_add_u64 v[36:37], v[34:35], 4, s[68:69]
	s_wait_xcnt 0x0
	v_add_nc_u32_e32 v34, s12, v34
	s_wait_loadcnt 0x0
	global_store_b128 v[36:37], v[0:3], off
	v_cmp_le_i32_e32 vcc_lo, s15, v34
	s_or_b32 s74, vcc_lo, s74
	s_wait_xcnt 0x0
	s_and_not1_b32 exec_lo, exec_lo, s74
	s_cbranch_execz .LBB39_28
.LBB39_26:                              ;   Parent Loop BB39_4 Depth=1
                                        ; =>  This Loop Header: Depth=2
                                        ;       Child Loop BB39_27 Depth 3
	global_load_b128 v[0:3], v34, s[68:69] scale_offset
	v_mov_b64_e32 v[36:37], v[32:33]
	s_and_not1_b32 vcc_lo, exec_lo, s87
	s_mov_b64 s[70:71], s[52:53]
	s_mov_b64 s[72:73], s[54:55]
	s_mov_b32 s75, s26
	s_cbranch_vccnz .LBB39_25
.LBB39_27:                              ;   Parent Loop BB39_4 Depth=1
                                        ;     Parent Loop BB39_26 Depth=2
                                        ; =>    This Inner Loop Header: Depth=3
	global_load_b128 v[38:41], v[36:37], off offset:-8
	s_clause 0x1
	global_load_b64 v[46:47], v5, s[72:73]
	global_load_b64 v[48:49], v5, s[70:71]
	s_add_co_i32 s75, s75, -1
	s_wait_xcnt 0x1
	s_add_nc_u64 s[72:73], s[72:73], 8
	s_cmp_eq_u32 s75, 0
	s_wait_xcnt 0x0
	s_add_nc_u64 s[70:71], s[70:71], 8
	s_wait_loadcnt 0x1
	v_mul_f64_e32 v[42:43], v[46:47], v[38:39]
	v_mul_f64_e32 v[44:45], v[46:47], v[40:41]
	s_wait_loadcnt 0x0
	v_mul_f64_e32 v[38:39], v[48:49], v[38:39]
	v_mul_f64_e32 v[40:41], v[48:49], v[40:41]
	s_delay_alu instid0(VALU_DEP_4) | instskip(NEXT) | instid1(VALU_DEP_4)
	v_fmac_f64_e32 v[42:43], v[0:1], v[48:49]
	v_fmac_f64_e32 v[44:45], v[2:3], v[48:49]
	s_delay_alu instid0(VALU_DEP_4) | instskip(NEXT) | instid1(VALU_DEP_4)
	v_fma_f64 v[0:1], v[0:1], v[46:47], -v[38:39]
	v_fma_f64 v[2:3], v[2:3], v[46:47], -v[40:41]
	global_store_b128 v[36:37], v[42:45], off offset:-8
	s_wait_xcnt 0x0
	v_add_nc_u64_e32 v[36:37], s[40:41], v[36:37]
	s_cbranch_scc0 .LBB39_27
	s_branch .LBB39_25
.LBB39_28:                              ;   in Loop: Header=BB39_4 Depth=1
	s_or_b32 exec_lo, exec_lo, s47
.LBB39_29:                              ;   in Loop: Header=BB39_4 Depth=1
	s_mov_b32 s47, 0
.LBB39_30:                              ;   in Loop: Header=BB39_4 Depth=1
	s_delay_alu instid0(SALU_CYCLE_1)
	s_and_not1_b32 vcc_lo, exec_lo, s47
	s_cbranch_vccnz .LBB39_37
; %bb.31:                               ;   in Loop: Header=BB39_4 Depth=1
	s_and_saveexec_b32 s47, s0
	s_cbranch_execz .LBB39_36
; %bb.32:                               ;   in Loop: Header=BB39_4 Depth=1
	v_mov_b64_e32 v[32:33], v[30:31]
	v_mov_b32_e32 v34, v4
	s_mov_b32 s72, 0
	s_branch .LBB39_34
.LBB39_33:                              ;   in Loop: Header=BB39_34 Depth=2
	v_ashrrev_i32_e32 v35, 31, v34
	v_add_nc_u64_e32 v[32:33], s[42:43], v[32:33]
	s_delay_alu instid0(VALU_DEP_2)
	v_lshl_add_u64 v[36:37], v[34:35], 4, s[56:57]
	s_wait_xcnt 0x0
	v_add_nc_u32_e32 v34, s12, v34
	s_wait_loadcnt 0x0
	global_store_b128 v[36:37], v[0:3], off
	v_cmp_le_i32_e32 vcc_lo, s15, v34
	s_or_b32 s72, vcc_lo, s72
	s_wait_xcnt 0x0
	s_and_not1_b32 exec_lo, exec_lo, s72
	s_cbranch_execz .LBB39_36
.LBB39_34:                              ;   Parent Loop BB39_4 Depth=1
                                        ; =>  This Loop Header: Depth=2
                                        ;       Child Loop BB39_35 Depth 3
	global_load_b128 v[0:3], v34, s[56:57] scale_offset
	v_mov_b64_e32 v[36:37], v[32:33]
	s_and_not1_b32 vcc_lo, exec_lo, s87
	s_mov_b64 s[68:69], s[66:67]
	s_mov_b64 s[70:71], s[64:65]
	s_mov_b32 s73, s27
	s_cbranch_vccnz .LBB39_33
.LBB39_35:                              ;   Parent Loop BB39_4 Depth=1
                                        ;     Parent Loop BB39_34 Depth=2
                                        ; =>    This Inner Loop Header: Depth=3
	s_clause 0x1
	global_load_b64 v[42:43], v5, s[68:69]
	global_load_b64 v[44:45], v5, s[70:71]
	global_load_b128 v[38:41], v[36:37], off offset:-8
	s_wait_loadcnt 0x3
	v_mov_b64_e32 v[46:47], v[0:1]
	v_mov_b64_e32 v[48:49], v[2:3]
	s_add_co_i32 s73, s73, -1
	s_wait_xcnt 0x1
	s_add_nc_u64 s[70:71], s[70:71], -8
	s_cmp_lt_u32 s73, 3
	s_add_nc_u64 s[68:69], s[68:69], -8
	s_wait_loadcnt 0x2
	v_mul_f64_e32 v[50:51], v[46:47], v[42:43]
	v_mul_f64_e32 v[52:53], v[48:49], v[42:43]
	s_wait_loadcnt 0x0
	v_mul_f64_e32 v[0:1], v[42:43], v[38:39]
	v_mul_f64_e32 v[2:3], v[42:43], v[40:41]
	s_delay_alu instid0(VALU_DEP_4) | instskip(NEXT) | instid1(VALU_DEP_4)
	v_fma_f64 v[38:39], v[44:45], v[38:39], -v[50:51]
	v_fma_f64 v[40:41], v[44:45], v[40:41], -v[52:53]
	s_delay_alu instid0(VALU_DEP_4) | instskip(NEXT) | instid1(VALU_DEP_4)
	v_fmac_f64_e32 v[0:1], v[46:47], v[44:45]
	v_fmac_f64_e32 v[2:3], v[48:49], v[44:45]
	global_store_b128 v[36:37], v[38:41], off offset:-8
	s_wait_xcnt 0x0
	v_add_nc_u64_e32 v[36:37], s[44:45], v[36:37]
	s_cbranch_scc0 .LBB39_35
	s_branch .LBB39_33
.LBB39_36:                              ;   in Loop: Header=BB39_4 Depth=1
	s_or_b32 exec_lo, exec_lo, s47
.LBB39_37:                              ;   in Loop: Header=BB39_4 Depth=1
	s_mov_b32 s47, 0
.LBB39_38:                              ;   in Loop: Header=BB39_4 Depth=1
	s_delay_alu instid0(SALU_CYCLE_1)
	s_and_not1_b32 vcc_lo, exec_lo, s47
	s_cbranch_vccnz .LBB39_45
; %bb.39:                               ;   in Loop: Header=BB39_4 Depth=1
	s_and_saveexec_b32 s47, s0
	s_cbranch_execz .LBB39_44
; %bb.40:                               ;   in Loop: Header=BB39_4 Depth=1
	v_add_nc_u64_e32 v[32:33], s[58:59], v[16:17]
	v_mov_b32_e32 v34, v4
	s_mov_b32 s72, 0
	s_branch .LBB39_42
.LBB39_41:                              ;   in Loop: Header=BB39_42 Depth=2
	v_ashrrev_i32_e32 v35, 31, v34
	v_add_nc_u64_e32 v[32:33], s[42:43], v[32:33]
	s_delay_alu instid0(VALU_DEP_2)
	v_lshl_add_u64 v[36:37], v[34:35], 4, s[56:57]
	s_wait_xcnt 0x0
	v_add_nc_u32_e32 v34, s12, v34
	s_wait_loadcnt 0x0
	global_store_b128 v[36:37], v[0:3], off
	v_cmp_le_i32_e32 vcc_lo, s15, v34
	s_or_b32 s72, vcc_lo, s72
	s_wait_xcnt 0x0
	s_and_not1_b32 exec_lo, exec_lo, s72
	s_cbranch_execz .LBB39_44
.LBB39_42:                              ;   Parent Loop BB39_4 Depth=1
                                        ; =>  This Loop Header: Depth=2
                                        ;       Child Loop BB39_43 Depth 3
	global_load_b128 v[0:3], v34, s[56:57] scale_offset
	v_mov_b64_e32 v[36:37], v[32:33]
	s_and_not1_b32 vcc_lo, exec_lo, s87
	s_mov_b32 s73, s26
	s_mov_b64 s[68:69], s[54:55]
	s_mov_b64 s[70:71], s[52:53]
	s_cbranch_vccnz .LBB39_41
.LBB39_43:                              ;   Parent Loop BB39_4 Depth=1
                                        ;     Parent Loop BB39_42 Depth=2
                                        ; =>    This Inner Loop Header: Depth=3
	s_clause 0x1
	global_load_b64 v[42:43], v5, s[70:71]
	global_load_b64 v[44:45], v5, s[68:69]
	global_load_b128 v[38:41], v[36:37], off offset:-8
	s_wait_loadcnt 0x3
	v_mov_b64_e32 v[46:47], v[0:1]
	v_mov_b64_e32 v[48:49], v[2:3]
	s_add_co_i32 s73, s73, -1
	s_wait_xcnt 0x2
	s_add_nc_u64 s[70:71], s[70:71], 8
	s_cmp_eq_u32 s73, 0
	s_wait_xcnt 0x1
	s_add_nc_u64 s[68:69], s[68:69], 8
	s_wait_loadcnt 0x2
	v_mul_f64_e32 v[50:51], v[46:47], v[42:43]
	v_mul_f64_e32 v[52:53], v[48:49], v[42:43]
	s_wait_loadcnt 0x0
	v_mul_f64_e32 v[0:1], v[42:43], v[38:39]
	v_mul_f64_e32 v[2:3], v[42:43], v[40:41]
	s_delay_alu instid0(VALU_DEP_4) | instskip(NEXT) | instid1(VALU_DEP_4)
	v_fma_f64 v[38:39], v[44:45], v[38:39], -v[50:51]
	v_fma_f64 v[40:41], v[44:45], v[40:41], -v[52:53]
	s_delay_alu instid0(VALU_DEP_4) | instskip(NEXT) | instid1(VALU_DEP_4)
	v_fmac_f64_e32 v[0:1], v[46:47], v[44:45]
	v_fmac_f64_e32 v[2:3], v[48:49], v[44:45]
	global_store_b128 v[36:37], v[38:41], off offset:-8
	s_wait_xcnt 0x0
	v_add_nc_u64_e32 v[36:37], s[40:41], v[36:37]
	s_cbranch_scc0 .LBB39_43
	s_branch .LBB39_41
.LBB39_44:                              ;   in Loop: Header=BB39_4 Depth=1
	s_or_b32 exec_lo, exec_lo, s47
.LBB39_45:                              ;   in Loop: Header=BB39_4 Depth=1
	s_mov_b32 s47, 0
.LBB39_46:                              ;   in Loop: Header=BB39_4 Depth=1
	s_delay_alu instid0(SALU_CYCLE_1)
	s_and_not1_b32 vcc_lo, exec_lo, s47
	s_cbranch_vccnz .LBB39_54
; %bb.47:                               ;   in Loop: Header=BB39_4 Depth=1
	s_and_saveexec_b32 s47, s0
	s_cbranch_execz .LBB39_53
; %bb.48:                               ;   in Loop: Header=BB39_4 Depth=1
	v_add_nc_u64_e32 v[32:33], s[58:59], v[6:7]
	v_mov_b32_e32 v34, v4
	s_lshl_b64 s[68:69], s[28:29], 4
	s_mov_b32 s89, 0
	s_add_nc_u64 s[68:69], s[56:57], s[68:69]
	s_branch .LBB39_50
.LBB39_49:                              ;   in Loop: Header=BB39_50 Depth=2
	v_ashrrev_i32_e32 v35, 31, v34
	v_add_nc_u64_e32 v[32:33], s[42:43], v[32:33]
	v_add_nc_u64_e32 v[30:31], s[42:43], v[30:31]
	s_wait_xcnt 0x0
	s_delay_alu instid0(VALU_DEP_3)
	v_lshl_add_u64 v[36:37], v[34:35], 4, s[56:57]
	v_add_nc_u32_e32 v34, s12, v34
	s_wait_loadcnt 0x0
	global_store_b128 v[36:37], v[0:3], off
	v_cmp_le_i32_e32 vcc_lo, s15, v34
	s_or_b32 s89, vcc_lo, s89
	s_wait_xcnt 0x0
	s_and_not1_b32 exec_lo, exec_lo, s89
	s_cbranch_execz .LBB39_53
.LBB39_50:                              ;   Parent Loop BB39_4 Depth=1
                                        ; =>  This Loop Header: Depth=2
                                        ;       Child Loop BB39_52 Depth 3
	global_load_b128 v[0:3], v34, s[68:69] scale_offset
	s_and_not1_b32 vcc_lo, exec_lo, s87
	s_cbranch_vccnz .LBB39_49
; %bb.51:                               ;   in Loop: Header=BB39_50 Depth=2
	s_mov_b64 s[70:71], 0
	s_mov_b64 s[72:73], s[66:67]
	;; [unrolled: 1-line block ×3, first 2 shown]
	s_mov_b32 s90, s26
.LBB39_52:                              ;   Parent Loop BB39_4 Depth=1
                                        ;     Parent Loop BB39_50 Depth=2
                                        ; =>    This Inner Loop Header: Depth=3
	s_wait_xcnt 0x0
	v_add_nc_u64_e32 v[36:37], s[70:71], v[32:33]
	s_wait_loadcnt 0x0
	v_mov_b64_e32 v[44:45], v[2:3]
	v_mov_b64_e32 v[46:47], v[0:1]
	s_add_co_i32 s90, s90, -1
	s_clause 0x1
	global_load_b64 v[40:41], v5, s[74:75]
	global_load_b64 v[42:43], v5, s[72:73]
	global_load_b128 v[36:39], v[36:37], off
	s_wait_xcnt 0x2
	s_add_nc_u64 s[74:75], s[74:75], -8
	s_cmp_eq_u32 s90, 0
	s_wait_xcnt 0x1
	s_add_nc_u64 s[72:73], s[72:73], -8
	s_wait_loadcnt 0x0
	v_mul_f64_e32 v[48:49], v[42:43], v[36:37]
	v_mul_f64_e32 v[50:51], v[42:43], v[38:39]
	;; [unrolled: 1-line block ×4, first 2 shown]
	s_wait_xcnt 0x0
	s_delay_alu instid0(VALU_DEP_4) | instskip(NEXT) | instid1(VALU_DEP_4)
	v_fma_f64 v[36:37], v[46:47], v[40:41], -v[48:49]
	v_fma_f64 v[38:39], v[44:45], v[40:41], -v[50:51]
	s_delay_alu instid0(VALU_DEP_4) | instskip(NEXT) | instid1(VALU_DEP_4)
	v_fmac_f64_e32 v[0:1], v[46:47], v[42:43]
	v_fmac_f64_e32 v[2:3], v[44:45], v[42:43]
	v_add_nc_u64_e32 v[40:41], s[70:71], v[30:31]
	s_sub_nc_u64 s[70:71], s[70:71], s[40:41]
	global_store_b128 v[40:41], v[36:39], off offset:-8
	s_cbranch_scc0 .LBB39_52
	s_branch .LBB39_49
.LBB39_53:                              ;   in Loop: Header=BB39_4 Depth=1
	s_or_b32 exec_lo, exec_lo, s47
.LBB39_54:                              ;   in Loop: Header=BB39_4 Depth=1
	s_mov_b32 s47, 0
.LBB39_55:                              ;   in Loop: Header=BB39_4 Depth=1
	s_delay_alu instid0(SALU_CYCLE_1)
	s_and_not1_b32 vcc_lo, exec_lo, s47
	s_cbranch_vccnz .LBB39_62
; %bb.56:                               ;   in Loop: Header=BB39_4 Depth=1
	s_and_saveexec_b32 s47, s0
	s_cbranch_execz .LBB39_61
; %bb.57:                               ;   in Loop: Header=BB39_4 Depth=1
	v_mov_b32_e32 v30, v4
	s_lshl_b64 s[64:65], s[28:29], 4
	s_mov_b32 s70, 0
	s_add_nc_u64 s[64:65], s[56:57], s[64:65]
	s_branch .LBB39_59
.LBB39_58:                              ;   in Loop: Header=BB39_59 Depth=2
	v_ashrrev_i32_e32 v31, 31, v30
	v_add_nc_u64_e32 v[28:29], s[42:43], v[28:29]
	s_delay_alu instid0(VALU_DEP_2)
	v_lshl_add_u64 v[32:33], v[30:31], 4, s[64:65]
	s_wait_xcnt 0x0
	v_add_nc_u32_e32 v30, s12, v30
	s_wait_loadcnt 0x0
	global_store_b128 v[32:33], v[0:3], off
	v_cmp_le_i32_e32 vcc_lo, s15, v30
	s_or_b32 s70, vcc_lo, s70
	s_wait_xcnt 0x0
	s_and_not1_b32 exec_lo, exec_lo, s70
	s_cbranch_execz .LBB39_61
.LBB39_59:                              ;   Parent Loop BB39_4 Depth=1
                                        ; =>  This Loop Header: Depth=2
                                        ;       Child Loop BB39_60 Depth 3
	global_load_b128 v[0:3], v30, s[56:57] scale_offset
	v_mov_b64_e32 v[32:33], v[28:29]
	s_and_not1_b32 vcc_lo, exec_lo, s87
	s_mov_b64 s[66:67], s[52:53]
	s_mov_b64 s[68:69], s[54:55]
	s_mov_b32 s71, s26
	s_cbranch_vccnz .LBB39_58
.LBB39_60:                              ;   Parent Loop BB39_4 Depth=1
                                        ;     Parent Loop BB39_59 Depth=2
                                        ; =>    This Inner Loop Header: Depth=3
	s_delay_alu instid0(VALU_DEP_1)
	v_add_nc_u64_e32 v[42:43], s[40:41], v[32:33]
	s_add_co_i32 s71, s71, -1
	global_load_b128 v[34:37], v[42:43], off offset:-8
	s_clause 0x1
	global_load_b64 v[44:45], v5, s[66:67]
	global_load_b64 v[46:47], v5, s[68:69]
	s_wait_xcnt 0x0
	s_add_nc_u64 s[68:69], s[68:69], 8
	s_cmp_eq_u32 s71, 0
	s_add_nc_u64 s[66:67], s[66:67], 8
	s_wait_loadcnt 0x1
	v_mul_f64_e32 v[38:39], v[44:45], v[34:35]
	v_mul_f64_e32 v[40:41], v[44:45], v[36:37]
	;; [unrolled: 1-line block ×4, first 2 shown]
	s_wait_loadcnt 0x0
	s_delay_alu instid0(VALU_DEP_4) | instskip(NEXT) | instid1(VALU_DEP_4)
	v_fmac_f64_e32 v[38:39], v[0:1], v[46:47]
	v_fmac_f64_e32 v[40:41], v[2:3], v[46:47]
	s_delay_alu instid0(VALU_DEP_4) | instskip(NEXT) | instid1(VALU_DEP_4)
	v_fma_f64 v[0:1], v[46:47], v[34:35], -v[48:49]
	v_fma_f64 v[2:3], v[46:47], v[36:37], -v[44:45]
	global_store_b128 v[32:33], v[38:41], off offset:-8
	s_wait_xcnt 0x0
	v_mov_b64_e32 v[32:33], v[42:43]
	s_cbranch_scc0 .LBB39_60
	s_branch .LBB39_58
.LBB39_61:                              ;   in Loop: Header=BB39_4 Depth=1
	s_or_b32 exec_lo, exec_lo, s47
.LBB39_62:                              ;   in Loop: Header=BB39_4 Depth=1
	s_mov_b32 s47, 0
.LBB39_63:                              ;   in Loop: Header=BB39_4 Depth=1
	s_delay_alu instid0(SALU_CYCLE_1)
	s_and_not1_b32 vcc_lo, exec_lo, s47
	s_cbranch_vccnz .LBB39_70
; %bb.64:                               ;   in Loop: Header=BB39_4 Depth=1
	s_and_saveexec_b32 s47, s1
	s_cbranch_execz .LBB39_69
; %bb.65:                               ;   in Loop: Header=BB39_4 Depth=1
	v_add_nc_u64_e32 v[28:29], s[58:59], v[18:19]
	v_mov_b32_e32 v30, v4
	s_lshl_b64 s[64:65], s[30:31], 4
	s_mov_b32 s70, 0
	s_add_nc_u64 s[64:65], s[56:57], s[64:65]
	s_branch .LBB39_67
.LBB39_66:                              ;   in Loop: Header=BB39_67 Depth=2
	v_add_nc_u32_e32 v30, s12, v30
	v_add_nc_u64_e32 v[28:29], s[50:51], v[28:29]
	s_wait_loadcnt 0x0
	global_store_b128 v[32:33], v[0:3], off offset:-16
	v_cmp_le_i32_e32 vcc_lo, s23, v30
	s_or_b32 s70, vcc_lo, s70
	s_wait_xcnt 0x0
	s_and_not1_b32 exec_lo, exec_lo, s70
	s_cbranch_execz .LBB39_69
.LBB39_67:                              ;   Parent Loop BB39_4 Depth=1
                                        ; =>  This Loop Header: Depth=2
                                        ;       Child Loop BB39_68 Depth 3
	v_ashrrev_i32_e32 v31, 31, v30
	v_mov_b64_e32 v[34:35], v[28:29]
	s_and_not1_b32 vcc_lo, exec_lo, s88
	s_mov_b64 s[66:67], s[62:63]
	s_mov_b64 s[68:69], s[60:61]
	v_mul_u64_e32 v[0:1], s[20:21], v[30:31]
	s_mov_b32 s71, s46
	s_delay_alu instid0(VALU_DEP_1)
	v_lshl_add_u64 v[32:33], v[0:1], 4, s[64:65]
	global_load_b128 v[0:3], v[32:33], off offset:-16
	s_cbranch_vccnz .LBB39_66
.LBB39_68:                              ;   Parent Loop BB39_4 Depth=1
                                        ;     Parent Loop BB39_67 Depth=2
                                        ; =>    This Inner Loop Header: Depth=3
	global_load_b128 v[36:39], v[34:35], off offset:-8
	s_clause 0x1
	global_load_b64 v[44:45], v5, s[68:69]
	global_load_b64 v[46:47], v5, s[66:67]
	s_add_co_i32 s71, s71, -1
	s_wait_xcnt 0x1
	s_add_nc_u64 s[68:69], s[68:69], -8
	s_cmp_eq_u32 s71, 0
	s_wait_xcnt 0x0
	s_add_nc_u64 s[66:67], s[66:67], -8
	s_wait_loadcnt 0x1
	v_mul_f64_e32 v[40:41], v[44:45], v[36:37]
	v_mul_f64_e32 v[42:43], v[44:45], v[38:39]
	s_wait_loadcnt 0x0
	v_mul_f64_e32 v[36:37], v[46:47], v[36:37]
	v_mul_f64_e32 v[38:39], v[46:47], v[38:39]
	s_delay_alu instid0(VALU_DEP_4) | instskip(NEXT) | instid1(VALU_DEP_4)
	v_fmac_f64_e32 v[40:41], v[0:1], v[46:47]
	v_fmac_f64_e32 v[42:43], v[2:3], v[46:47]
	s_delay_alu instid0(VALU_DEP_4) | instskip(NEXT) | instid1(VALU_DEP_4)
	v_fma_f64 v[0:1], v[0:1], v[44:45], -v[36:37]
	v_fma_f64 v[2:3], v[2:3], v[44:45], -v[38:39]
	global_store_b128 v[34:35], v[40:43], off offset:-8
	s_wait_xcnt 0x0
	v_add_nc_u64_e32 v[34:35], -16, v[34:35]
	s_cbranch_scc0 .LBB39_68
	s_branch .LBB39_66
.LBB39_69:                              ;   in Loop: Header=BB39_4 Depth=1
	s_or_b32 exec_lo, exec_lo, s47
.LBB39_70:                              ;   in Loop: Header=BB39_4 Depth=1
	s_mov_b32 s47, 0
.LBB39_71:                              ;   in Loop: Header=BB39_4 Depth=1
	s_delay_alu instid0(SALU_CYCLE_1)
	s_and_not1_b32 vcc_lo, exec_lo, s47
	s_cbranch_vccnz .LBB39_78
; %bb.72:                               ;   in Loop: Header=BB39_4 Depth=1
	s_and_saveexec_b32 s47, s1
	s_cbranch_execz .LBB39_77
; %bb.73:                               ;   in Loop: Header=BB39_4 Depth=1
	v_add_nc_u64_e32 v[28:29], s[58:59], v[20:21]
	v_mov_b32_e32 v30, v4
	s_lshl_b64 s[64:65], s[30:31], 4
	s_mov_b32 s70, 0
	s_add_nc_u64 s[64:65], s[56:57], s[64:65]
	s_branch .LBB39_75
.LBB39_74:                              ;   in Loop: Header=BB39_75 Depth=2
	v_add_nc_u32_e32 v30, s12, v30
	v_add_nc_u64_e32 v[28:29], s[50:51], v[28:29]
	s_wait_loadcnt 0x0
	global_store_b128 v[32:33], v[0:3], off offset:-16
	v_cmp_le_i32_e32 vcc_lo, s23, v30
	s_or_b32 s70, vcc_lo, s70
	s_wait_xcnt 0x0
	s_and_not1_b32 exec_lo, exec_lo, s70
	s_cbranch_execz .LBB39_77
.LBB39_75:                              ;   Parent Loop BB39_4 Depth=1
                                        ; =>  This Loop Header: Depth=2
                                        ;       Child Loop BB39_76 Depth 3
	v_ashrrev_i32_e32 v31, 31, v30
	v_mov_b64_e32 v[34:35], v[28:29]
	s_and_not1_b32 vcc_lo, exec_lo, s88
	s_mov_b64 s[66:67], s[52:53]
	s_mov_b64 s[68:69], s[54:55]
	v_mul_u64_e32 v[0:1], s[20:21], v[30:31]
	s_mov_b32 s71, s46
	s_delay_alu instid0(VALU_DEP_1)
	v_lshl_add_u64 v[32:33], v[0:1], 4, s[64:65]
	global_load_b128 v[0:3], v[32:33], off offset:-16
	s_cbranch_vccnz .LBB39_74
.LBB39_76:                              ;   Parent Loop BB39_4 Depth=1
                                        ;     Parent Loop BB39_75 Depth=2
                                        ; =>    This Inner Loop Header: Depth=3
	global_load_b128 v[36:39], v[34:35], off offset:-8
	s_clause 0x1
	global_load_b64 v[44:45], v5, s[68:69]
	global_load_b64 v[46:47], v5, s[66:67]
	s_add_co_i32 s71, s71, -1
	s_wait_xcnt 0x1
	s_add_nc_u64 s[68:69], s[68:69], 8
	s_cmp_eq_u32 s71, 0
	s_wait_xcnt 0x0
	s_add_nc_u64 s[66:67], s[66:67], 8
	s_wait_loadcnt 0x1
	v_mul_f64_e32 v[40:41], v[44:45], v[36:37]
	v_mul_f64_e32 v[42:43], v[44:45], v[38:39]
	s_wait_loadcnt 0x0
	v_mul_f64_e32 v[36:37], v[46:47], v[36:37]
	v_mul_f64_e32 v[38:39], v[46:47], v[38:39]
	s_delay_alu instid0(VALU_DEP_4) | instskip(NEXT) | instid1(VALU_DEP_4)
	v_fmac_f64_e32 v[40:41], v[0:1], v[46:47]
	v_fmac_f64_e32 v[42:43], v[2:3], v[46:47]
	s_delay_alu instid0(VALU_DEP_4) | instskip(NEXT) | instid1(VALU_DEP_4)
	v_fma_f64 v[0:1], v[0:1], v[44:45], -v[36:37]
	v_fma_f64 v[2:3], v[2:3], v[44:45], -v[38:39]
	global_store_b128 v[34:35], v[40:43], off offset:-8
	s_wait_xcnt 0x0
	v_add_nc_u64_e32 v[34:35], 16, v[34:35]
	s_cbranch_scc0 .LBB39_76
	s_branch .LBB39_74
.LBB39_77:                              ;   in Loop: Header=BB39_4 Depth=1
	s_or_b32 exec_lo, exec_lo, s47
.LBB39_78:                              ;   in Loop: Header=BB39_4 Depth=1
	s_mov_b32 s47, 0
.LBB39_79:                              ;   in Loop: Header=BB39_4 Depth=1
	s_delay_alu instid0(SALU_CYCLE_1)
	s_and_not1_b32 vcc_lo, exec_lo, s47
	s_cbranch_vccnz .LBB39_86
; %bb.80:                               ;   in Loop: Header=BB39_4 Depth=1
	s_and_saveexec_b32 s47, s1
	s_cbranch_execz .LBB39_85
; %bb.81:                               ;   in Loop: Header=BB39_4 Depth=1
	v_add_nc_u64_e32 v[28:29], s[58:59], v[22:23]
	v_mov_b32_e32 v30, v4
	s_mov_b32 s68, 0
	s_branch .LBB39_83
.LBB39_82:                              ;   in Loop: Header=BB39_83 Depth=2
	v_add_nc_u32_e32 v30, s12, v30
	v_add_nc_u64_e32 v[28:29], s[50:51], v[28:29]
	s_wait_loadcnt 0x0
	global_store_b128 v[32:33], v[0:3], off
	v_cmp_le_i32_e32 vcc_lo, s23, v30
	s_or_b32 s68, vcc_lo, s68
	s_wait_xcnt 0x0
	s_and_not1_b32 exec_lo, exec_lo, s68
	s_cbranch_execz .LBB39_85
.LBB39_83:                              ;   Parent Loop BB39_4 Depth=1
                                        ; =>  This Loop Header: Depth=2
                                        ;       Child Loop BB39_84 Depth 3
	s_delay_alu instid0(VALU_DEP_1) | instskip(NEXT) | instid1(VALU_DEP_3)
	v_ashrrev_i32_e32 v31, 31, v30
	v_mov_b64_e32 v[34:35], v[28:29]
	s_and_not1_b32 vcc_lo, exec_lo, s88
	s_mov_b64 s[64:65], s[62:63]
	s_mov_b64 s[66:67], s[60:61]
	v_mul_u64_e32 v[0:1], s[20:21], v[30:31]
	s_mov_b32 s69, s13
	s_delay_alu instid0(VALU_DEP_1)
	v_lshl_add_u64 v[32:33], v[0:1], 4, s[56:57]
	global_load_b128 v[0:3], v[32:33], off
	s_cbranch_vccnz .LBB39_82
.LBB39_84:                              ;   Parent Loop BB39_4 Depth=1
                                        ;     Parent Loop BB39_83 Depth=2
                                        ; =>    This Inner Loop Header: Depth=3
	s_clause 0x1
	global_load_b64 v[40:41], v5, s[64:65]
	global_load_b64 v[42:43], v5, s[66:67]
	global_load_b128 v[36:39], v[34:35], off offset:-8
	s_wait_loadcnt 0x3
	v_mov_b64_e32 v[44:45], v[0:1]
	v_mov_b64_e32 v[46:47], v[2:3]
	s_add_co_i32 s69, s69, -1
	s_wait_xcnt 0x1
	s_add_nc_u64 s[66:67], s[66:67], -8
	s_cmp_lt_u32 s69, 3
	s_add_nc_u64 s[64:65], s[64:65], -8
	s_wait_loadcnt 0x2
	v_mul_f64_e32 v[48:49], v[44:45], v[40:41]
	v_mul_f64_e32 v[50:51], v[46:47], v[40:41]
	s_wait_loadcnt 0x0
	v_mul_f64_e32 v[0:1], v[40:41], v[36:37]
	v_mul_f64_e32 v[2:3], v[40:41], v[38:39]
	s_delay_alu instid0(VALU_DEP_4) | instskip(NEXT) | instid1(VALU_DEP_4)
	v_fma_f64 v[36:37], v[42:43], v[36:37], -v[48:49]
	v_fma_f64 v[38:39], v[42:43], v[38:39], -v[50:51]
	s_delay_alu instid0(VALU_DEP_4) | instskip(NEXT) | instid1(VALU_DEP_4)
	v_fmac_f64_e32 v[0:1], v[44:45], v[42:43]
	v_fmac_f64_e32 v[2:3], v[46:47], v[42:43]
	global_store_b128 v[34:35], v[36:39], off offset:-8
	s_wait_xcnt 0x0
	v_add_nc_u64_e32 v[34:35], -16, v[34:35]
	s_cbranch_scc0 .LBB39_84
	s_branch .LBB39_82
.LBB39_85:                              ;   in Loop: Header=BB39_4 Depth=1
	s_or_b32 exec_lo, exec_lo, s47
.LBB39_86:                              ;   in Loop: Header=BB39_4 Depth=1
	s_mov_b32 s47, 0
.LBB39_87:                              ;   in Loop: Header=BB39_4 Depth=1
	s_delay_alu instid0(SALU_CYCLE_1)
	s_and_not1_b32 vcc_lo, exec_lo, s47
	s_cbranch_vccnz .LBB39_94
; %bb.88:                               ;   in Loop: Header=BB39_4 Depth=1
	s_and_saveexec_b32 s47, s1
	s_cbranch_execz .LBB39_93
; %bb.89:                               ;   in Loop: Header=BB39_4 Depth=1
	v_add_nc_u64_e32 v[28:29], s[58:59], v[24:25]
	v_mov_b32_e32 v30, v4
	s_mov_b32 s68, 0
	s_branch .LBB39_91
.LBB39_90:                              ;   in Loop: Header=BB39_91 Depth=2
	v_add_nc_u32_e32 v30, s12, v30
	v_add_nc_u64_e32 v[28:29], s[50:51], v[28:29]
	s_wait_loadcnt 0x0
	global_store_b128 v[32:33], v[0:3], off
	v_cmp_le_i32_e32 vcc_lo, s23, v30
	s_or_b32 s68, vcc_lo, s68
	s_wait_xcnt 0x0
	s_and_not1_b32 exec_lo, exec_lo, s68
	s_cbranch_execz .LBB39_93
.LBB39_91:                              ;   Parent Loop BB39_4 Depth=1
                                        ; =>  This Loop Header: Depth=2
                                        ;       Child Loop BB39_92 Depth 3
	s_delay_alu instid0(VALU_DEP_1) | instskip(NEXT) | instid1(VALU_DEP_3)
	v_ashrrev_i32_e32 v31, 31, v30
	v_mov_b64_e32 v[34:35], v[28:29]
	s_and_not1_b32 vcc_lo, exec_lo, s88
	s_mov_b32 s69, s46
	s_mov_b64 s[64:65], s[54:55]
	v_mul_u64_e32 v[0:1], s[20:21], v[30:31]
	s_mov_b64 s[66:67], s[52:53]
	s_delay_alu instid0(VALU_DEP_1)
	v_lshl_add_u64 v[32:33], v[0:1], 4, s[56:57]
	global_load_b128 v[0:3], v[32:33], off
	s_cbranch_vccnz .LBB39_90
.LBB39_92:                              ;   Parent Loop BB39_4 Depth=1
                                        ;     Parent Loop BB39_91 Depth=2
                                        ; =>    This Inner Loop Header: Depth=3
	s_clause 0x1
	global_load_b64 v[40:41], v5, s[66:67]
	global_load_b64 v[42:43], v5, s[64:65]
	global_load_b128 v[36:39], v[34:35], off
	s_wait_loadcnt 0x3
	v_mov_b64_e32 v[44:45], v[0:1]
	v_mov_b64_e32 v[46:47], v[2:3]
	s_add_co_i32 s69, s69, -1
	s_wait_xcnt 0x2
	s_add_nc_u64 s[66:67], s[66:67], 8
	s_cmp_eq_u32 s69, 0
	s_wait_xcnt 0x1
	s_add_nc_u64 s[64:65], s[64:65], 8
	s_wait_loadcnt 0x2
	v_mul_f64_e32 v[48:49], v[44:45], v[40:41]
	v_mul_f64_e32 v[50:51], v[46:47], v[40:41]
	s_wait_loadcnt 0x0
	v_mul_f64_e32 v[0:1], v[40:41], v[36:37]
	v_mul_f64_e32 v[2:3], v[40:41], v[38:39]
	s_delay_alu instid0(VALU_DEP_4) | instskip(NEXT) | instid1(VALU_DEP_4)
	v_fma_f64 v[36:37], v[42:43], v[36:37], -v[48:49]
	v_fma_f64 v[38:39], v[42:43], v[38:39], -v[50:51]
	s_delay_alu instid0(VALU_DEP_4) | instskip(NEXT) | instid1(VALU_DEP_4)
	v_fmac_f64_e32 v[0:1], v[44:45], v[42:43]
	v_fmac_f64_e32 v[2:3], v[46:47], v[42:43]
	global_store_b128 v[34:35], v[36:39], off
	s_wait_xcnt 0x0
	v_add_nc_u64_e32 v[34:35], 16, v[34:35]
	s_cbranch_scc0 .LBB39_92
	s_branch .LBB39_90
.LBB39_93:                              ;   in Loop: Header=BB39_4 Depth=1
	s_or_b32 exec_lo, exec_lo, s47
.LBB39_94:                              ;   in Loop: Header=BB39_4 Depth=1
	s_mov_b32 s47, 0
.LBB39_95:                              ;   in Loop: Header=BB39_4 Depth=1
	s_delay_alu instid0(SALU_CYCLE_1)
	s_and_not1_b32 vcc_lo, exec_lo, s47
	s_cbranch_vccnz .LBB39_102
; %bb.96:                               ;   in Loop: Header=BB39_4 Depth=1
	s_and_saveexec_b32 s47, s1
	s_cbranch_execz .LBB39_101
; %bb.97:                               ;   in Loop: Header=BB39_4 Depth=1
	v_add_nc_u64_e32 v[28:29], s[58:59], v[14:15]
	v_mov_b32_e32 v30, v4
	s_lshl_b64 s[64:65], s[30:31], 4
	s_mov_b32 s70, 0
	s_add_nc_u64 s[64:65], s[56:57], s[64:65]
	s_branch .LBB39_99
.LBB39_98:                              ;   in Loop: Header=BB39_99 Depth=2
	v_add_nc_u32_e32 v30, s12, v30
	v_add_nc_u64_e32 v[28:29], s[50:51], v[28:29]
	v_lshl_add_u64 v[32:33], v[32:33], 4, s[56:57]
	s_delay_alu instid0(VALU_DEP_3)
	v_cmp_le_i32_e32 vcc_lo, s23, v30
	s_wait_loadcnt 0x0
	global_store_b128 v[32:33], v[0:3], off
	s_or_b32 s70, vcc_lo, s70
	s_wait_xcnt 0x0
	s_and_not1_b32 exec_lo, exec_lo, s70
	s_cbranch_execz .LBB39_101
.LBB39_99:                              ;   Parent Loop BB39_4 Depth=1
                                        ; =>  This Loop Header: Depth=2
                                        ;       Child Loop BB39_100 Depth 3
	v_ashrrev_i32_e32 v31, 31, v30
	v_mov_b64_e32 v[34:35], v[28:29]
	s_and_not1_b32 vcc_lo, exec_lo, s88
	s_mov_b64 s[66:67], s[62:63]
	s_mov_b64 s[68:69], s[60:61]
	v_mul_u64_e32 v[32:33], s[20:21], v[30:31]
	s_mov_b32 s71, s46
	s_delay_alu instid0(VALU_DEP_1)
	v_lshl_add_u64 v[0:1], v[32:33], 4, s[64:65]
	global_load_b128 v[0:3], v[0:1], off offset:-16
	s_cbranch_vccnz .LBB39_98
.LBB39_100:                             ;   Parent Loop BB39_4 Depth=1
                                        ;     Parent Loop BB39_99 Depth=2
                                        ; =>    This Inner Loop Header: Depth=3
	global_load_b128 v[36:39], v[34:35], off
	s_clause 0x1
	global_load_b64 v[40:41], v5, s[66:67]
	global_load_b64 v[42:43], v5, s[68:69]
	s_wait_loadcnt 0x3
	v_mov_b64_e32 v[48:49], v[2:3]
	v_mov_b64_e32 v[50:51], v[0:1]
	s_add_co_i32 s71, s71, -1
	s_wait_xcnt 0x0
	s_add_nc_u64 s[68:69], s[68:69], -8
	s_cmp_eq_u32 s71, 0
	s_add_nc_u64 s[66:67], s[66:67], -8
	s_wait_loadcnt 0x1
	v_mul_f64_e32 v[44:45], v[40:41], v[36:37]
	v_mul_f64_e32 v[46:47], v[40:41], v[38:39]
	s_wait_loadcnt 0x0
	v_mul_f64_e32 v[0:1], v[42:43], v[36:37]
	v_mul_f64_e32 v[2:3], v[42:43], v[38:39]
	s_delay_alu instid0(VALU_DEP_4) | instskip(NEXT) | instid1(VALU_DEP_4)
	v_fma_f64 v[36:37], v[50:51], v[42:43], -v[44:45]
	v_fma_f64 v[38:39], v[48:49], v[42:43], -v[46:47]
	s_delay_alu instid0(VALU_DEP_4) | instskip(NEXT) | instid1(VALU_DEP_4)
	v_fmac_f64_e32 v[0:1], v[50:51], v[40:41]
	v_fmac_f64_e32 v[2:3], v[48:49], v[40:41]
	global_store_b128 v[34:35], v[36:39], off offset:16
	s_wait_xcnt 0x0
	v_add_nc_u64_e32 v[34:35], -16, v[34:35]
	s_cbranch_scc0 .LBB39_100
	s_branch .LBB39_98
.LBB39_101:                             ;   in Loop: Header=BB39_4 Depth=1
	s_or_b32 exec_lo, exec_lo, s47
.LBB39_102:                             ;   in Loop: Header=BB39_4 Depth=1
	s_cbranch_execnz .LBB39_3
.LBB39_103:                             ;   in Loop: Header=BB39_4 Depth=1
	s_and_saveexec_b32 s47, s1
	s_cbranch_execz .LBB39_2
; %bb.104:                              ;   in Loop: Header=BB39_4 Depth=1
	v_add_nc_u64_e32 v[28:29], s[58:59], v[26:27]
	v_mov_b32_e32 v30, v4
	s_lshl_b64 s[58:59], s[30:31], 4
	s_mov_b32 s64, 0
	s_add_nc_u64 s[58:59], s[56:57], s[58:59]
	s_branch .LBB39_106
.LBB39_105:                             ;   in Loop: Header=BB39_106 Depth=2
	v_add_nc_u32_e32 v30, s12, v30
	v_add_nc_u64_e32 v[28:29], s[50:51], v[28:29]
	v_lshl_add_u64 v[32:33], v[32:33], 4, s[58:59]
	s_delay_alu instid0(VALU_DEP_3)
	v_cmp_le_i32_e32 vcc_lo, s23, v30
	s_wait_loadcnt 0x0
	global_store_b128 v[32:33], v[0:3], off offset:-16
	s_or_b32 s64, vcc_lo, s64
	s_wait_xcnt 0x0
	s_and_not1_b32 exec_lo, exec_lo, s64
	s_cbranch_execz .LBB39_2
.LBB39_106:                             ;   Parent Loop BB39_4 Depth=1
                                        ; =>  This Loop Header: Depth=2
                                        ;       Child Loop BB39_107 Depth 3
	v_ashrrev_i32_e32 v31, 31, v30
	v_mov_b64_e32 v[34:35], v[28:29]
	s_and_not1_b32 vcc_lo, exec_lo, s88
	s_mov_b64 s[60:61], s[54:55]
	s_mov_b64 s[62:63], s[52:53]
	v_mul_u64_e32 v[32:33], s[20:21], v[30:31]
	s_mov_b32 s65, s46
	s_delay_alu instid0(VALU_DEP_1)
	v_lshl_add_u64 v[0:1], v[32:33], 4, s[56:57]
	global_load_b128 v[0:3], v[0:1], off
	s_cbranch_vccnz .LBB39_105
.LBB39_107:                             ;   Parent Loop BB39_4 Depth=1
                                        ;     Parent Loop BB39_106 Depth=2
                                        ; =>    This Inner Loop Header: Depth=3
	global_load_b128 v[36:39], v[34:35], off offset:-8
	s_clause 0x1
	global_load_b64 v[44:45], v5, s[62:63]
	global_load_b64 v[46:47], v5, s[60:61]
	s_add_co_i32 s65, s65, -1
	s_wait_xcnt 0x1
	s_add_nc_u64 s[62:63], s[62:63], 8
	s_cmp_eq_u32 s65, 0
	s_wait_xcnt 0x0
	s_add_nc_u64 s[60:61], s[60:61], 8
	s_wait_loadcnt 0x1
	v_mul_f64_e32 v[40:41], v[44:45], v[36:37]
	v_mul_f64_e32 v[42:43], v[44:45], v[38:39]
	;; [unrolled: 1-line block ×4, first 2 shown]
	s_wait_loadcnt 0x0
	s_delay_alu instid0(VALU_DEP_4) | instskip(NEXT) | instid1(VALU_DEP_4)
	v_fmac_f64_e32 v[40:41], v[0:1], v[46:47]
	v_fmac_f64_e32 v[42:43], v[2:3], v[46:47]
	s_delay_alu instid0(VALU_DEP_4) | instskip(NEXT) | instid1(VALU_DEP_4)
	v_fma_f64 v[0:1], v[46:47], v[36:37], -v[48:49]
	v_fma_f64 v[2:3], v[46:47], v[38:39], -v[44:45]
	global_store_b128 v[34:35], v[40:43], off offset:-24
	s_wait_xcnt 0x0
	v_add_nc_u64_e32 v[34:35], 16, v[34:35]
	s_cbranch_scc0 .LBB39_107
	s_branch .LBB39_105
.LBB39_108:
	s_endpgm
	.section	.rodata,"a",@progbits
	.p2align	6, 0x0
	.amdhsa_kernel _ZN9rocsolver6v33100L11lasr_kernelI19rocblas_complex_numIdEdPS3_iEEv13rocblas_side_14rocblas_pivot_15rocblas_direct_T2_S8_PT0_lSA_lT1_lS8_lS8_
		.amdhsa_group_segment_fixed_size 0
		.amdhsa_private_segment_fixed_size 0
		.amdhsa_kernarg_size 352
		.amdhsa_user_sgpr_count 2
		.amdhsa_user_sgpr_dispatch_ptr 0
		.amdhsa_user_sgpr_queue_ptr 0
		.amdhsa_user_sgpr_kernarg_segment_ptr 1
		.amdhsa_user_sgpr_dispatch_id 0
		.amdhsa_user_sgpr_kernarg_preload_length 0
		.amdhsa_user_sgpr_kernarg_preload_offset 0
		.amdhsa_user_sgpr_private_segment_size 0
		.amdhsa_wavefront_size32 1
		.amdhsa_uses_dynamic_stack 0
		.amdhsa_enable_private_segment 0
		.amdhsa_system_sgpr_workgroup_id_x 1
		.amdhsa_system_sgpr_workgroup_id_y 0
		.amdhsa_system_sgpr_workgroup_id_z 1
		.amdhsa_system_sgpr_workgroup_info 0
		.amdhsa_system_vgpr_workitem_id 0
		.amdhsa_next_free_vgpr 54
		.amdhsa_next_free_sgpr 91
		.amdhsa_named_barrier_count 0
		.amdhsa_reserve_vcc 1
		.amdhsa_float_round_mode_32 0
		.amdhsa_float_round_mode_16_64 0
		.amdhsa_float_denorm_mode_32 3
		.amdhsa_float_denorm_mode_16_64 3
		.amdhsa_fp16_overflow 0
		.amdhsa_memory_ordered 1
		.amdhsa_forward_progress 1
		.amdhsa_inst_pref_size 36
		.amdhsa_round_robin_scheduling 0
		.amdhsa_exception_fp_ieee_invalid_op 0
		.amdhsa_exception_fp_denorm_src 0
		.amdhsa_exception_fp_ieee_div_zero 0
		.amdhsa_exception_fp_ieee_overflow 0
		.amdhsa_exception_fp_ieee_underflow 0
		.amdhsa_exception_fp_ieee_inexact 0
		.amdhsa_exception_int_div_zero 0
	.end_amdhsa_kernel
	.section	.text._ZN9rocsolver6v33100L11lasr_kernelI19rocblas_complex_numIdEdPS3_iEEv13rocblas_side_14rocblas_pivot_15rocblas_direct_T2_S8_PT0_lSA_lT1_lS8_lS8_,"axG",@progbits,_ZN9rocsolver6v33100L11lasr_kernelI19rocblas_complex_numIdEdPS3_iEEv13rocblas_side_14rocblas_pivot_15rocblas_direct_T2_S8_PT0_lSA_lT1_lS8_lS8_,comdat
.Lfunc_end39:
	.size	_ZN9rocsolver6v33100L11lasr_kernelI19rocblas_complex_numIdEdPS3_iEEv13rocblas_side_14rocblas_pivot_15rocblas_direct_T2_S8_PT0_lSA_lT1_lS8_lS8_, .Lfunc_end39-_ZN9rocsolver6v33100L11lasr_kernelI19rocblas_complex_numIdEdPS3_iEEv13rocblas_side_14rocblas_pivot_15rocblas_direct_T2_S8_PT0_lSA_lT1_lS8_lS8_
                                        ; -- End function
	.set _ZN9rocsolver6v33100L11lasr_kernelI19rocblas_complex_numIdEdPS3_iEEv13rocblas_side_14rocblas_pivot_15rocblas_direct_T2_S8_PT0_lSA_lT1_lS8_lS8_.num_vgpr, 54
	.set _ZN9rocsolver6v33100L11lasr_kernelI19rocblas_complex_numIdEdPS3_iEEv13rocblas_side_14rocblas_pivot_15rocblas_direct_T2_S8_PT0_lSA_lT1_lS8_lS8_.num_agpr, 0
	.set _ZN9rocsolver6v33100L11lasr_kernelI19rocblas_complex_numIdEdPS3_iEEv13rocblas_side_14rocblas_pivot_15rocblas_direct_T2_S8_PT0_lSA_lT1_lS8_lS8_.numbered_sgpr, 91
	.set _ZN9rocsolver6v33100L11lasr_kernelI19rocblas_complex_numIdEdPS3_iEEv13rocblas_side_14rocblas_pivot_15rocblas_direct_T2_S8_PT0_lSA_lT1_lS8_lS8_.num_named_barrier, 0
	.set _ZN9rocsolver6v33100L11lasr_kernelI19rocblas_complex_numIdEdPS3_iEEv13rocblas_side_14rocblas_pivot_15rocblas_direct_T2_S8_PT0_lSA_lT1_lS8_lS8_.private_seg_size, 0
	.set _ZN9rocsolver6v33100L11lasr_kernelI19rocblas_complex_numIdEdPS3_iEEv13rocblas_side_14rocblas_pivot_15rocblas_direct_T2_S8_PT0_lSA_lT1_lS8_lS8_.uses_vcc, 1
	.set _ZN9rocsolver6v33100L11lasr_kernelI19rocblas_complex_numIdEdPS3_iEEv13rocblas_side_14rocblas_pivot_15rocblas_direct_T2_S8_PT0_lSA_lT1_lS8_lS8_.uses_flat_scratch, 0
	.set _ZN9rocsolver6v33100L11lasr_kernelI19rocblas_complex_numIdEdPS3_iEEv13rocblas_side_14rocblas_pivot_15rocblas_direct_T2_S8_PT0_lSA_lT1_lS8_lS8_.has_dyn_sized_stack, 0
	.set _ZN9rocsolver6v33100L11lasr_kernelI19rocblas_complex_numIdEdPS3_iEEv13rocblas_side_14rocblas_pivot_15rocblas_direct_T2_S8_PT0_lSA_lT1_lS8_lS8_.has_recursion, 0
	.set _ZN9rocsolver6v33100L11lasr_kernelI19rocblas_complex_numIdEdPS3_iEEv13rocblas_side_14rocblas_pivot_15rocblas_direct_T2_S8_PT0_lSA_lT1_lS8_lS8_.has_indirect_call, 0
	.section	.AMDGPU.csdata,"",@progbits
; Kernel info:
; codeLenInByte = 4536
; TotalNumSgprs: 93
; NumVgprs: 54
; ScratchSize: 0
; MemoryBound: 0
; FloatMode: 240
; IeeeMode: 1
; LDSByteSize: 0 bytes/workgroup (compile time only)
; SGPRBlocks: 0
; VGPRBlocks: 3
; NumSGPRsForWavesPerEU: 93
; NumVGPRsForWavesPerEU: 54
; NamedBarCnt: 0
; Occupancy: 16
; WaveLimiterHint : 0
; COMPUTE_PGM_RSRC2:SCRATCH_EN: 0
; COMPUTE_PGM_RSRC2:USER_SGPR: 2
; COMPUTE_PGM_RSRC2:TRAP_HANDLER: 0
; COMPUTE_PGM_RSRC2:TGID_X_EN: 1
; COMPUTE_PGM_RSRC2:TGID_Y_EN: 0
; COMPUTE_PGM_RSRC2:TGID_Z_EN: 1
; COMPUTE_PGM_RSRC2:TIDIG_COMP_CNT: 0
	.section	.text._ZN9rocsolver6v33100L11scal_kernelId19rocblas_complex_numIdEiEEvT1_T_PT0_S4_,"axG",@progbits,_ZN9rocsolver6v33100L11scal_kernelId19rocblas_complex_numIdEiEEvT1_T_PT0_S4_,comdat
	.globl	_ZN9rocsolver6v33100L11scal_kernelId19rocblas_complex_numIdEiEEvT1_T_PT0_S4_ ; -- Begin function _ZN9rocsolver6v33100L11scal_kernelId19rocblas_complex_numIdEiEEvT1_T_PT0_S4_
	.p2align	8
	.type	_ZN9rocsolver6v33100L11scal_kernelId19rocblas_complex_numIdEiEEvT1_T_PT0_S4_,@function
_ZN9rocsolver6v33100L11scal_kernelId19rocblas_complex_numIdEiEEvT1_T_PT0_S4_: ; @_ZN9rocsolver6v33100L11scal_kernelId19rocblas_complex_numIdEiEEvT1_T_PT0_S4_
; %bb.0:
	s_load_b32 s10, s[0:1], 0x0
	s_wait_kmcnt 0x0
	s_cmp_lt_i32 s10, 1
	s_cbranch_scc1 .LBB40_10
; %bb.1:
	s_clause 0x3
	s_load_b32 s2, s[0:1], 0x2c
	s_load_b128 s[4:7], s[0:1], 0x8
	s_load_b32 s8, s[0:1], 0x18
	s_load_b32 s3, s[0:1], 0x20
	s_wait_xcnt 0x0
	s_bfe_u32 s0, ttmp6, 0x4000c
	s_and_b32 s1, ttmp6, 15
	s_add_co_i32 s0, s0, 1
	s_getreg_b32 s9, hwreg(HW_REG_IB_STS2, 6, 4)
	s_mul_i32 s0, ttmp9, s0
	s_delay_alu instid0(SALU_CYCLE_1)
	s_add_co_i32 s1, s1, s0
	s_wait_kmcnt 0x0
	s_and_b32 s2, s2, 0xffff
	s_cmp_eq_u32 s9, 0
	s_cselect_b32 s0, ttmp9, s1
	s_cmp_eq_u32 s8, 1
	v_mad_u32 v0, s0, s2, v0
	s_mul_i32 s2, s3, s2
	s_mov_b32 s1, -1
	s_delay_alu instid0(VALU_DEP_1)
	v_cmp_gt_i32_e64 s0, s10, v0
	s_cbranch_scc1 .LBB40_6
; %bb.2:
	s_and_saveexec_b32 s1, s0
	s_cbranch_execz .LBB40_5
; %bb.3:
	v_ashrrev_i32_e32 v1, 31, v0
	s_ashr_i32 s9, s8, 31
	s_ashr_i32 s3, s2, 31
	s_delay_alu instid0(VALU_DEP_1) | instskip(SKIP_4) | instid1(VALU_DEP_2)
	v_mul_u64_e32 v[2:3], s[8:9], v[0:1]
	v_mov_b32_e32 v1, v0
	s_mul_u64 s[8:9], s[8:9], s[2:3]
	s_mov_b32 s3, 0
	s_lshl_b64 s[8:9], s[8:9], 4
	v_lshl_add_u64 v[2:3], v[2:3], 4, s[6:7]
	s_delay_alu instid0(VALU_DEP_1)
	v_add_nc_u64_e32 v[2:3], 8, v[2:3]
.LBB40_4:                               ; =>This Inner Loop Header: Depth=1
	global_load_b128 v[4:7], v[2:3], off offset:-8
	v_add_nc_u32_e32 v1, s2, v1
	s_delay_alu instid0(VALU_DEP_1)
	v_cmp_le_i32_e32 vcc_lo, s10, v1
	s_or_b32 s3, vcc_lo, s3
	s_wait_loadcnt 0x0
	v_mul_f64_e32 v[4:5], s[4:5], v[4:5]
	v_mul_f64_e32 v[6:7], s[4:5], v[6:7]
	global_store_b128 v[2:3], v[4:7], off offset:-8
	s_wait_xcnt 0x0
	v_add_nc_u64_e32 v[2:3], s[8:9], v[2:3]
	s_and_not1_b32 exec_lo, exec_lo, s3
	s_cbranch_execnz .LBB40_4
.LBB40_5:
	s_or_b32 exec_lo, exec_lo, s1
	s_mov_b32 s1, 0
.LBB40_6:
	s_delay_alu instid0(SALU_CYCLE_1)
	s_and_not1_b32 vcc_lo, exec_lo, s1
	s_cbranch_vccnz .LBB40_10
; %bb.7:
	s_and_saveexec_b32 s1, s0
	s_cbranch_execz .LBB40_10
; %bb.8:
	v_ashrrev_i32_e32 v1, 31, v0
	s_ashr_i32 s3, s2, 31
	s_delay_alu instid0(SALU_CYCLE_1) | instskip(SKIP_1) | instid1(VALU_DEP_1)
	s_lshl_b64 s[0:1], s[2:3], 4
	s_mov_b32 s3, 0
	v_lshl_add_u64 v[2:3], v[0:1], 4, s[6:7]
	s_delay_alu instid0(VALU_DEP_1)
	v_add_nc_u64_e32 v[2:3], 8, v[2:3]
.LBB40_9:                               ; =>This Inner Loop Header: Depth=1
	global_load_b128 v[4:7], v[2:3], off offset:-8
	v_add_nc_u32_e32 v0, s2, v0
	s_delay_alu instid0(VALU_DEP_1)
	v_cmp_le_i32_e32 vcc_lo, s10, v0
	s_or_b32 s3, vcc_lo, s3
	s_wait_loadcnt 0x0
	v_mul_f64_e32 v[4:5], s[4:5], v[4:5]
	v_mul_f64_e32 v[6:7], s[4:5], v[6:7]
	global_store_b128 v[2:3], v[4:7], off offset:-8
	s_wait_xcnt 0x0
	v_add_nc_u64_e32 v[2:3], s[0:1], v[2:3]
	s_and_not1_b32 exec_lo, exec_lo, s3
	s_cbranch_execnz .LBB40_9
.LBB40_10:
	s_endpgm
	.section	.rodata,"a",@progbits
	.p2align	6, 0x0
	.amdhsa_kernel _ZN9rocsolver6v33100L11scal_kernelId19rocblas_complex_numIdEiEEvT1_T_PT0_S4_
		.amdhsa_group_segment_fixed_size 0
		.amdhsa_private_segment_fixed_size 0
		.amdhsa_kernarg_size 288
		.amdhsa_user_sgpr_count 2
		.amdhsa_user_sgpr_dispatch_ptr 0
		.amdhsa_user_sgpr_queue_ptr 0
		.amdhsa_user_sgpr_kernarg_segment_ptr 1
		.amdhsa_user_sgpr_dispatch_id 0
		.amdhsa_user_sgpr_kernarg_preload_length 0
		.amdhsa_user_sgpr_kernarg_preload_offset 0
		.amdhsa_user_sgpr_private_segment_size 0
		.amdhsa_wavefront_size32 1
		.amdhsa_uses_dynamic_stack 0
		.amdhsa_enable_private_segment 0
		.amdhsa_system_sgpr_workgroup_id_x 1
		.amdhsa_system_sgpr_workgroup_id_y 0
		.amdhsa_system_sgpr_workgroup_id_z 0
		.amdhsa_system_sgpr_workgroup_info 0
		.amdhsa_system_vgpr_workitem_id 0
		.amdhsa_next_free_vgpr 8
		.amdhsa_next_free_sgpr 11
		.amdhsa_named_barrier_count 0
		.amdhsa_reserve_vcc 1
		.amdhsa_float_round_mode_32 0
		.amdhsa_float_round_mode_16_64 0
		.amdhsa_float_denorm_mode_32 3
		.amdhsa_float_denorm_mode_16_64 3
		.amdhsa_fp16_overflow 0
		.amdhsa_memory_ordered 1
		.amdhsa_forward_progress 1
		.amdhsa_inst_pref_size 4
		.amdhsa_round_robin_scheduling 0
		.amdhsa_exception_fp_ieee_invalid_op 0
		.amdhsa_exception_fp_denorm_src 0
		.amdhsa_exception_fp_ieee_div_zero 0
		.amdhsa_exception_fp_ieee_overflow 0
		.amdhsa_exception_fp_ieee_underflow 0
		.amdhsa_exception_fp_ieee_inexact 0
		.amdhsa_exception_int_div_zero 0
	.end_amdhsa_kernel
	.section	.text._ZN9rocsolver6v33100L11scal_kernelId19rocblas_complex_numIdEiEEvT1_T_PT0_S4_,"axG",@progbits,_ZN9rocsolver6v33100L11scal_kernelId19rocblas_complex_numIdEiEEvT1_T_PT0_S4_,comdat
.Lfunc_end40:
	.size	_ZN9rocsolver6v33100L11scal_kernelId19rocblas_complex_numIdEiEEvT1_T_PT0_S4_, .Lfunc_end40-_ZN9rocsolver6v33100L11scal_kernelId19rocblas_complex_numIdEiEEvT1_T_PT0_S4_
                                        ; -- End function
	.set _ZN9rocsolver6v33100L11scal_kernelId19rocblas_complex_numIdEiEEvT1_T_PT0_S4_.num_vgpr, 8
	.set _ZN9rocsolver6v33100L11scal_kernelId19rocblas_complex_numIdEiEEvT1_T_PT0_S4_.num_agpr, 0
	.set _ZN9rocsolver6v33100L11scal_kernelId19rocblas_complex_numIdEiEEvT1_T_PT0_S4_.numbered_sgpr, 11
	.set _ZN9rocsolver6v33100L11scal_kernelId19rocblas_complex_numIdEiEEvT1_T_PT0_S4_.num_named_barrier, 0
	.set _ZN9rocsolver6v33100L11scal_kernelId19rocblas_complex_numIdEiEEvT1_T_PT0_S4_.private_seg_size, 0
	.set _ZN9rocsolver6v33100L11scal_kernelId19rocblas_complex_numIdEiEEvT1_T_PT0_S4_.uses_vcc, 1
	.set _ZN9rocsolver6v33100L11scal_kernelId19rocblas_complex_numIdEiEEvT1_T_PT0_S4_.uses_flat_scratch, 0
	.set _ZN9rocsolver6v33100L11scal_kernelId19rocblas_complex_numIdEiEEvT1_T_PT0_S4_.has_dyn_sized_stack, 0
	.set _ZN9rocsolver6v33100L11scal_kernelId19rocblas_complex_numIdEiEEvT1_T_PT0_S4_.has_recursion, 0
	.set _ZN9rocsolver6v33100L11scal_kernelId19rocblas_complex_numIdEiEEvT1_T_PT0_S4_.has_indirect_call, 0
	.section	.AMDGPU.csdata,"",@progbits
; Kernel info:
; codeLenInByte = 412
; TotalNumSgprs: 13
; NumVgprs: 8
; ScratchSize: 0
; MemoryBound: 0
; FloatMode: 240
; IeeeMode: 1
; LDSByteSize: 0 bytes/workgroup (compile time only)
; SGPRBlocks: 0
; VGPRBlocks: 0
; NumSGPRsForWavesPerEU: 13
; NumVGPRsForWavesPerEU: 8
; NamedBarCnt: 0
; Occupancy: 16
; WaveLimiterHint : 0
; COMPUTE_PGM_RSRC2:SCRATCH_EN: 0
; COMPUTE_PGM_RSRC2:USER_SGPR: 2
; COMPUTE_PGM_RSRC2:TRAP_HANDLER: 0
; COMPUTE_PGM_RSRC2:TGID_X_EN: 1
; COMPUTE_PGM_RSRC2:TGID_Y_EN: 0
; COMPUTE_PGM_RSRC2:TGID_Z_EN: 0
; COMPUTE_PGM_RSRC2:TIDIG_COMP_CNT: 0
	.section	.text._ZN9rocsolver6v33100L17bdsqr_lower2upperI19rocblas_complex_numIdEdPS3_S4_EEviiiPT0_lS6_lT1_iilT2_iilPiS6_lS9_,"axG",@progbits,_ZN9rocsolver6v33100L17bdsqr_lower2upperI19rocblas_complex_numIdEdPS3_S4_EEviiiPT0_lS6_lT1_iilT2_iilPiS6_lS9_,comdat
	.globl	_ZN9rocsolver6v33100L17bdsqr_lower2upperI19rocblas_complex_numIdEdPS3_S4_EEviiiPT0_lS6_lT1_iilT2_iilPiS6_lS9_ ; -- Begin function _ZN9rocsolver6v33100L17bdsqr_lower2upperI19rocblas_complex_numIdEdPS3_S4_EEviiiPT0_lS6_lT1_iilT2_iilPiS6_lS9_
	.p2align	8
	.type	_ZN9rocsolver6v33100L17bdsqr_lower2upperI19rocblas_complex_numIdEdPS3_S4_EEviiiPT0_lS6_lT1_iilT2_iilPiS6_lS9_,@function
_ZN9rocsolver6v33100L17bdsqr_lower2upperI19rocblas_complex_numIdEdPS3_S4_EEviiiPT0_lS6_lT1_iilT2_iilPiS6_lS9_: ; @_ZN9rocsolver6v33100L17bdsqr_lower2upperI19rocblas_complex_numIdEdPS3_S4_EEviiiPT0_lS6_lT1_iilT2_iilPiS6_lS9_
; %bb.0:
	s_load_b64 s[2:3], s[0:1], 0x78
	s_bfe_u32 s4, ttmp6, 0x40010
	s_bfe_u32 s5, ttmp6, 0x40004
	s_add_co_i32 s4, s4, 1
	s_getreg_b32 s6, hwreg(HW_REG_IB_STS2, 6, 4)
	s_mul_i32 s4, ttmp7, s4
	s_delay_alu instid0(SALU_CYCLE_1) | instskip(SKIP_2) | instid1(SALU_CYCLE_1)
	s_add_co_i32 s5, s5, s4
	s_cmp_eq_u32 s6, 0
	s_cselect_b32 s24, ttmp7, s5
	s_ashr_i32 s25, s24, 31
	s_delay_alu instid0(SALU_CYCLE_1)
	s_lshl_b64 s[4:5], s[24:25], 2
	s_wait_kmcnt 0x0
	s_add_nc_u64 s[2:3], s[2:3], s[4:5]
	s_load_b32 s2, s[2:3], 0x8
	s_wait_kmcnt 0x0
	s_cmp_lg_u32 s2, 0
	s_cbranch_scc1 .LBB41_34
; %bb.1:
	s_clause 0x1
	s_load_b256 s[4:11], s[0:1], 0x30
	s_load_b128 s[16:19], s[0:1], 0x68
	s_mov_b64 s[2:3], 0
	s_mov_b64 s[22:23], 0
	s_wait_kmcnt 0x0
	s_cmp_eq_u64 s[4:5], 0
	s_cbranch_scc1 .LBB41_3
; %bb.2:
	s_mul_u64 s[8:9], s[8:9], s[24:25]
	s_ashr_i32 s13, s6, 31
	s_lshl_b64 s[8:9], s[8:9], 4
	s_mov_b32 s12, s6
	s_add_nc_u64 s[4:5], s[4:5], s[8:9]
	s_lshl_b64 s[8:9], s[12:13], 4
	s_delay_alu instid0(SALU_CYCLE_1)
	s_add_nc_u64 s[22:23], s[4:5], s[8:9]
.LBB41_3:
	s_load_b64 s[20:21], s[0:1], 0x50
	s_cmp_eq_u64 s[10:11], 0
	s_cbranch_scc1 .LBB41_5
; %bb.4:
	s_load_b64 s[2:3], s[0:1], 0x58
	s_wait_kmcnt 0x0
	s_ashr_i32 s5, s20, 31
	s_mov_b32 s4, s20
	s_delay_alu instid0(SALU_CYCLE_1) | instskip(SKIP_1) | instid1(SALU_CYCLE_1)
	s_lshl_b64 s[4:5], s[4:5], 4
	s_mul_u64 s[2:3], s[2:3], s[24:25]
	s_lshl_b64 s[2:3], s[2:3], 4
	s_delay_alu instid0(SALU_CYCLE_1) | instskip(NEXT) | instid1(SALU_CYCLE_1)
	s_add_nc_u64 s[2:3], s[10:11], s[2:3]
	s_add_nc_u64 s[2:3], s[2:3], s[4:5]
.LBB41_5:
	s_load_b96 s[4:6], s[0:1], 0x0
	s_mul_u64 s[18:19], s[18:19], s[24:25]
	s_wait_kmcnt 0x0
	s_mov_b32 s20, exec_lo
	v_cmpx_eq_u32_e32 0, v0
	s_cbranch_execz .LBB41_22
; %bb.6:
	s_load_b256 s[8:15], s[0:1], 0x10
	s_add_co_i32 s26, s4, -1
	s_wait_kmcnt 0x0
	s_mul_u64 s[10:11], s[10:11], s[24:25]
	s_delay_alu instid0(SALU_CYCLE_1)
	s_lshl_b64 s[10:11], s[10:11], 3
	s_cmp_lt_i32 s4, 2
	s_add_nc_u64 s[8:9], s[8:9], s[10:11]
	s_load_b64 s[10:11], s[8:9], 0x0
	s_wait_kmcnt 0x0
	v_mov_b64_e32 v[2:3], s[10:11]
	s_cbranch_scc1 .LBB41_21
; %bb.7:
	s_mul_u64 s[14:15], s[14:15], s[24:25]
	v_mov_b64_e32 v[2:3], s[10:11]
	s_lshl_b64 s[14:15], s[14:15], 3
	s_or_b32 s28, s6, s5
	s_add_nc_u64 s[24:25], s[12:13], s[14:15]
	s_lshl_b64 s[14:15], s[18:19], 3
	s_load_b64 s[12:13], s[24:25], 0x0
	v_mov_b32_e32 v1, 0
	s_cmp_lg_u32 s28, 0
	s_add_nc_u64 s[10:11], s[16:17], s[14:15]
	s_mov_b32 s27, 0
	s_cselect_b32 s28, -1, 0
	s_add_nc_u64 s[14:15], s[8:9], 8
	s_wait_xcnt 0x0
	s_add_nc_u64 s[24:25], s[24:25], 8
	s_wait_kmcnt 0x0
	v_mov_b64_e32 v[4:5], s[12:13]
	s_add_nc_u64 s[12:13], s[10:11], 32
	s_branch .LBB41_9
.LBB41_8:                               ;   in Loop: Header=BB41_9 Depth=1
	s_wait_loadcnt 0x0
	v_mul_f64_e32 v[2:3], v[6:7], v[2:3]
	s_add_co_i32 s27, s27, 1
	s_wait_xcnt 0x1
	s_add_nc_u64 s[12:13], s[12:13], 8
	s_wait_xcnt 0x0
	s_add_nc_u64 s[14:15], s[14:15], 8
	s_cmp_lg_u32 s26, s27
	s_add_nc_u64 s[24:25], s[24:25], 8
	s_cbranch_scc0 .LBB41_21
.LBB41_9:                               ; =>This Inner Loop Header: Depth=1
	s_delay_alu instid0(VALU_DEP_1)
	v_cmp_eq_f64_e32 vcc_lo, 0, v[4:5]
	s_cbranch_vccnz .LBB41_13
; %bb.10:                               ;   in Loop: Header=BB41_9 Depth=1
	s_delay_alu instid0(VALU_DEP_2)
	v_cmp_neq_f64_e32 vcc_lo, 0, v[2:3]
	s_cbranch_vccz .LBB41_14
; %bb.11:                               ;   in Loop: Header=BB41_9 Depth=1
	v_cmp_ngt_f64_e64 s29, |v[4:5]|, |v[2:3]|
	s_and_b32 vcc_lo, exec_lo, s29
	s_cbranch_vccz .LBB41_15
; %bb.12:                               ;   in Loop: Header=BB41_9 Depth=1
	v_div_scale_f64 v[6:7], null, v[2:3], v[2:3], -v[4:5]
	v_div_scale_f64 v[12:13], vcc_lo, -v[4:5], v[2:3], -v[4:5]
	s_delay_alu instid0(VALU_DEP_2) | instskip(SKIP_1) | instid1(TRANS32_DEP_1)
	v_rcp_f64_e32 v[8:9], v[6:7]
	v_nop
	v_fma_f64 v[10:11], -v[6:7], v[8:9], 1.0
	s_delay_alu instid0(VALU_DEP_1) | instskip(NEXT) | instid1(VALU_DEP_1)
	v_fmac_f64_e32 v[8:9], v[8:9], v[10:11]
	v_fma_f64 v[10:11], -v[6:7], v[8:9], 1.0
	s_delay_alu instid0(VALU_DEP_1) | instskip(NEXT) | instid1(VALU_DEP_1)
	v_fmac_f64_e32 v[8:9], v[8:9], v[10:11]
	v_mul_f64_e32 v[10:11], v[12:13], v[8:9]
	s_delay_alu instid0(VALU_DEP_1) | instskip(NEXT) | instid1(VALU_DEP_1)
	v_fma_f64 v[6:7], -v[6:7], v[10:11], v[12:13]
	v_div_fmas_f64 v[6:7], v[6:7], v[8:9], v[10:11]
	s_delay_alu instid0(VALU_DEP_1) | instskip(NEXT) | instid1(VALU_DEP_1)
	v_div_fixup_f64 v[8:9], v[6:7], v[2:3], -v[4:5]
	v_fma_f64 v[6:7], v[8:9], v[8:9], 1.0
	s_delay_alu instid0(VALU_DEP_1) | instskip(SKIP_2) | instid1(SALU_CYCLE_1)
	v_cmp_gt_f64_e32 vcc_lo, 0x10000000, v[6:7]
	s_and_b32 s29, vcc_lo, exec_lo
	s_cselect_b32 s29, 0x100, 0
	v_ldexp_f64 v[6:7], v[6:7], s29
	s_cselect_b32 s29, 0xffffff80, 0
	s_delay_alu instid0(VALU_DEP_1) | instskip(SKIP_1) | instid1(TRANS32_DEP_1)
	v_rsq_f64_e32 v[10:11], v[6:7]
	v_cmp_class_f64_e64 vcc_lo, v[6:7], 0x260
	v_mul_f64_e32 v[12:13], v[6:7], v[10:11]
	v_mul_f64_e32 v[10:11], 0.5, v[10:11]
	s_delay_alu instid0(VALU_DEP_1) | instskip(NEXT) | instid1(VALU_DEP_1)
	v_fma_f64 v[14:15], -v[10:11], v[12:13], 0.5
	v_fmac_f64_e32 v[12:13], v[12:13], v[14:15]
	v_fmac_f64_e32 v[10:11], v[10:11], v[14:15]
	s_delay_alu instid0(VALU_DEP_2) | instskip(NEXT) | instid1(VALU_DEP_1)
	v_fma_f64 v[14:15], -v[12:13], v[12:13], v[6:7]
	v_fmac_f64_e32 v[12:13], v[14:15], v[10:11]
	s_delay_alu instid0(VALU_DEP_1) | instskip(NEXT) | instid1(VALU_DEP_1)
	v_fma_f64 v[14:15], -v[12:13], v[12:13], v[6:7]
	v_fmac_f64_e32 v[12:13], v[14:15], v[10:11]
	s_delay_alu instid0(VALU_DEP_1) | instskip(NEXT) | instid1(VALU_DEP_1)
	v_ldexp_f64 v[10:11], v[12:13], s29
	v_dual_cndmask_b32 v7, v11, v7 :: v_dual_cndmask_b32 v6, v10, v6
	s_delay_alu instid0(VALU_DEP_1) | instskip(NEXT) | instid1(VALU_DEP_1)
	v_div_scale_f64 v[10:11], null, v[6:7], v[6:7], 1.0
	v_rcp_f64_e32 v[12:13], v[10:11]
	v_nop
	s_delay_alu instid0(TRANS32_DEP_1) | instskip(NEXT) | instid1(VALU_DEP_1)
	v_fma_f64 v[14:15], -v[10:11], v[12:13], 1.0
	v_fmac_f64_e32 v[12:13], v[12:13], v[14:15]
	s_delay_alu instid0(VALU_DEP_1) | instskip(NEXT) | instid1(VALU_DEP_1)
	v_fma_f64 v[14:15], -v[10:11], v[12:13], 1.0
	v_fmac_f64_e32 v[12:13], v[12:13], v[14:15]
	v_div_scale_f64 v[14:15], vcc_lo, 1.0, v[6:7], 1.0
	s_delay_alu instid0(VALU_DEP_1) | instskip(NEXT) | instid1(VALU_DEP_1)
	v_mul_f64_e32 v[16:17], v[14:15], v[12:13]
	v_fma_f64 v[10:11], -v[10:11], v[16:17], v[14:15]
	s_delay_alu instid0(VALU_DEP_1) | instskip(NEXT) | instid1(VALU_DEP_1)
	v_div_fmas_f64 v[10:11], v[10:11], v[12:13], v[16:17]
	v_div_fixup_f64 v[6:7], v[10:11], v[6:7], 1.0
	s_delay_alu instid0(VALU_DEP_1)
	v_mul_f64_e32 v[8:9], v[8:9], v[6:7]
	s_cbranch_execz .LBB41_16
	s_branch .LBB41_17
.LBB41_13:                              ;   in Loop: Header=BB41_9 Depth=1
	v_mov_b64_e32 v[8:9], 0
	v_mov_b64_e32 v[6:7], 1.0
	s_branch .LBB41_19
.LBB41_14:                              ;   in Loop: Header=BB41_9 Depth=1
	v_xor_b32_e32 v5, 0x80000000, v5
                                        ; implicit-def: $vgpr6_vgpr7
                                        ; implicit-def: $vgpr8_vgpr9
	s_delay_alu instid0(VALU_DEP_1)
	v_mov_b64_e32 v[2:3], v[4:5]
	s_cbranch_execnz .LBB41_18
	s_branch .LBB41_19
.LBB41_15:                              ;   in Loop: Header=BB41_9 Depth=1
                                        ; implicit-def: $vgpr6_vgpr7
                                        ; implicit-def: $vgpr8_vgpr9
.LBB41_16:                              ;   in Loop: Header=BB41_9 Depth=1
	v_div_scale_f64 v[6:7], null, v[4:5], v[4:5], -v[2:3]
	v_div_scale_f64 v[12:13], vcc_lo, -v[2:3], v[4:5], -v[2:3]
	s_delay_alu instid0(VALU_DEP_2) | instskip(SKIP_1) | instid1(TRANS32_DEP_1)
	v_rcp_f64_e32 v[8:9], v[6:7]
	v_nop
	v_fma_f64 v[10:11], -v[6:7], v[8:9], 1.0
	s_delay_alu instid0(VALU_DEP_1) | instskip(NEXT) | instid1(VALU_DEP_1)
	v_fmac_f64_e32 v[8:9], v[8:9], v[10:11]
	v_fma_f64 v[10:11], -v[6:7], v[8:9], 1.0
	s_delay_alu instid0(VALU_DEP_1) | instskip(NEXT) | instid1(VALU_DEP_1)
	v_fmac_f64_e32 v[8:9], v[8:9], v[10:11]
	v_mul_f64_e32 v[10:11], v[12:13], v[8:9]
	s_delay_alu instid0(VALU_DEP_1) | instskip(NEXT) | instid1(VALU_DEP_1)
	v_fma_f64 v[6:7], -v[6:7], v[10:11], v[12:13]
	v_div_fmas_f64 v[6:7], v[6:7], v[8:9], v[10:11]
	s_delay_alu instid0(VALU_DEP_1) | instskip(NEXT) | instid1(VALU_DEP_1)
	v_div_fixup_f64 v[6:7], v[6:7], v[4:5], -v[2:3]
	v_fma_f64 v[8:9], v[6:7], v[6:7], 1.0
	s_delay_alu instid0(VALU_DEP_1) | instskip(SKIP_2) | instid1(SALU_CYCLE_1)
	v_cmp_gt_f64_e32 vcc_lo, 0x10000000, v[8:9]
	s_and_b32 s29, vcc_lo, exec_lo
	s_cselect_b32 s29, 0x100, 0
	v_ldexp_f64 v[8:9], v[8:9], s29
	s_cselect_b32 s29, 0xffffff80, 0
	s_delay_alu instid0(VALU_DEP_1) | instskip(SKIP_1) | instid1(TRANS32_DEP_1)
	v_rsq_f64_e32 v[10:11], v[8:9]
	v_cmp_class_f64_e64 vcc_lo, v[8:9], 0x260
	v_mul_f64_e32 v[12:13], v[8:9], v[10:11]
	v_mul_f64_e32 v[10:11], 0.5, v[10:11]
	s_delay_alu instid0(VALU_DEP_1) | instskip(NEXT) | instid1(VALU_DEP_1)
	v_fma_f64 v[14:15], -v[10:11], v[12:13], 0.5
	v_fmac_f64_e32 v[12:13], v[12:13], v[14:15]
	v_fmac_f64_e32 v[10:11], v[10:11], v[14:15]
	s_delay_alu instid0(VALU_DEP_2) | instskip(NEXT) | instid1(VALU_DEP_1)
	v_fma_f64 v[14:15], -v[12:13], v[12:13], v[8:9]
	v_fmac_f64_e32 v[12:13], v[14:15], v[10:11]
	s_delay_alu instid0(VALU_DEP_1) | instskip(NEXT) | instid1(VALU_DEP_1)
	v_fma_f64 v[14:15], -v[12:13], v[12:13], v[8:9]
	v_fmac_f64_e32 v[12:13], v[14:15], v[10:11]
	s_delay_alu instid0(VALU_DEP_1) | instskip(NEXT) | instid1(VALU_DEP_1)
	v_ldexp_f64 v[10:11], v[12:13], s29
	v_dual_cndmask_b32 v9, v11, v9 :: v_dual_cndmask_b32 v8, v10, v8
	s_delay_alu instid0(VALU_DEP_1) | instskip(NEXT) | instid1(VALU_DEP_1)
	v_div_scale_f64 v[10:11], null, v[8:9], v[8:9], 1.0
	v_rcp_f64_e32 v[12:13], v[10:11]
	v_nop
	s_delay_alu instid0(TRANS32_DEP_1) | instskip(NEXT) | instid1(VALU_DEP_1)
	v_fma_f64 v[14:15], -v[10:11], v[12:13], 1.0
	v_fmac_f64_e32 v[12:13], v[12:13], v[14:15]
	s_delay_alu instid0(VALU_DEP_1) | instskip(NEXT) | instid1(VALU_DEP_1)
	v_fma_f64 v[14:15], -v[10:11], v[12:13], 1.0
	v_fmac_f64_e32 v[12:13], v[12:13], v[14:15]
	v_div_scale_f64 v[14:15], vcc_lo, 1.0, v[8:9], 1.0
	s_delay_alu instid0(VALU_DEP_1) | instskip(NEXT) | instid1(VALU_DEP_1)
	v_mul_f64_e32 v[16:17], v[14:15], v[12:13]
	v_fma_f64 v[10:11], -v[10:11], v[16:17], v[14:15]
	s_delay_alu instid0(VALU_DEP_1) | instskip(NEXT) | instid1(VALU_DEP_1)
	v_div_fmas_f64 v[10:11], v[10:11], v[12:13], v[16:17]
	v_div_fixup_f64 v[8:9], v[10:11], v[8:9], 1.0
	s_delay_alu instid0(VALU_DEP_1)
	v_mul_f64_e32 v[6:7], v[6:7], v[8:9]
.LBB41_17:                              ;   in Loop: Header=BB41_9 Depth=1
	s_delay_alu instid0(VALU_DEP_1) | instskip(NEXT) | instid1(VALU_DEP_1)
	v_mul_f64_e32 v[4:5], v[4:5], v[8:9]
	v_fma_f64 v[2:3], v[2:3], v[6:7], -v[4:5]
	s_branch .LBB41_19
.LBB41_18:                              ;   in Loop: Header=BB41_9 Depth=1
	v_mov_b64_e32 v[6:7], 0
	v_mov_b64_e32 v[8:9], 1.0
.LBB41_19:                              ;   in Loop: Header=BB41_9 Depth=1
	s_clause 0x2
	global_load_b64 v[10:11], v1, s[14:15]
	global_store_b64 v1, v[2:3], s[14:15] offset:-8
	global_load_b64 v[4:5], v1, s[24:25]
	s_and_not1_b32 vcc_lo, exec_lo, s28
	s_wait_loadcnt 0x1
	s_wait_xcnt 0x1
	v_mul_f64_e64 v[2:3], v[10:11], -v[8:9]
	s_clause 0x1
	global_store_b64 v1, v[2:3], s[24:25] offset:-8
	global_load_b64 v[2:3], v1, s[14:15]
	s_cbranch_vccnz .LBB41_8
; %bb.20:                               ;   in Loop: Header=BB41_9 Depth=1
	s_add_co_i32 s29, s4, s27
	s_delay_alu instid0(SALU_CYCLE_1)
	v_mov_b32_e32 v10, s29
	global_store_b64 v1, v[6:7], s[12:13]
	global_store_b64 v10, v[8:9], s[10:11] offset:32 scale_offset
	s_branch .LBB41_8
.LBB41_21:
	v_mov_b32_e32 v1, s26
	global_store_b64 v1, v[2:3], s[8:9] scale_offset
.LBB41_22:
	s_wait_xcnt 0x0
	s_or_b32 exec_lo, exec_lo, s20
	s_delay_alu instid0(SALU_CYCLE_1)
	s_mov_b32 s20, exec_lo
	s_wait_storecnt 0x0
	s_barrier_signal -1
	s_barrier_wait -1
	v_cmpx_gt_i32_e64 s5, v0
	s_cbranch_execz .LBB41_28
; %bb.23:
	s_load_b32 s26, s[0:1], 0x8c
	s_add_co_i32 s30, s4, -1
	s_cmp_gt_i32 s4, 1
	v_dual_mov_b32 v1, 0 :: v_dual_mov_b32 v6, v0
	s_cselect_b32 s31, -1, 0
	s_lshl_b64 s[24:25], s[18:19], 3
	s_mov_b32 s14, s7
	s_mov_b32 s11, 0
	;; [unrolled: 1-line block ×3, first 2 shown]
	s_mul_i32 s12, s7, s30
	s_ashr_i32 s15, s7, 31
	s_add_nc_u64 s[24:25], s[16:17], s[24:25]
	s_add_nc_u64 s[8:9], s[22:23], 8
	s_ashr_i32 s13, s12, 31
	s_lshl_b64 s[14:15], s[14:15], 4
	s_add_nc_u64 s[24:25], s[24:25], 32
	s_wait_kmcnt 0x0
	s_and_b32 s7, s26, 0xffff
	s_lshl_b64 s[26:27], s[10:11], 3
	s_branch .LBB41_25
.LBB41_24:                              ;   in Loop: Header=BB41_25 Depth=1
	s_delay_alu instid0(VALU_DEP_1) | instskip(SKIP_2) | instid1(VALU_DEP_2)
	v_lshl_add_u64 v[8:9], v[6:7], 4, s[22:23]
	s_wait_xcnt 0x0
	v_add_nc_u32_e32 v6, s7, v6
	v_lshl_add_u64 v[8:9], s[12:13], 4, v[8:9]
	s_delay_alu instid0(VALU_DEP_2)
	v_cmp_le_i32_e32 vcc_lo, s5, v6
	s_wait_loadcnt 0x0
	global_store_b128 v[8:9], v[2:5], off
	s_or_b32 s11, vcc_lo, s11
	s_wait_xcnt 0x0
	s_and_not1_b32 exec_lo, exec_lo, s11
	s_cbranch_execz .LBB41_28
.LBB41_25:                              ; =>This Loop Header: Depth=1
                                        ;     Child Loop BB41_27 Depth 2
	global_load_b128 v[2:5], v6, s[22:23] scale_offset
	v_ashrrev_i32_e32 v7, 31, v6
	s_and_not1_b32 vcc_lo, exec_lo, s31
	s_cbranch_vccnz .LBB41_24
; %bb.26:                               ;   in Loop: Header=BB41_25 Depth=1
	s_delay_alu instid0(VALU_DEP_1)
	v_lshl_add_u64 v[8:9], v[6:7], 4, s[8:9]
	s_mov_b32 s10, s30
	s_mov_b64 s[28:29], s[24:25]
.LBB41_27:                              ;   Parent Loop BB41_25 Depth=1
                                        ; =>  This Inner Loop Header: Depth=2
	s_delay_alu instid0(VALU_DEP_1)
	v_add_nc_u64_e32 v[18:19], s[14:15], v[8:9]
	s_add_nc_u64 s[34:35], s[28:29], s[26:27]
	s_add_co_i32 s10, s10, -1
	s_clause 0x1
	global_load_b64 v[20:21], v1, s[28:29]
	global_load_b64 v[22:23], v1, s[34:35]
	global_load_b128 v[10:13], v[18:19], off offset:-8
	s_cmp_lg_u32 s10, 0
	s_wait_xcnt 0x2
	s_add_nc_u64 s[28:29], s[28:29], 8
	s_wait_loadcnt 0x0
	v_mul_f64_e32 v[14:15], v[10:11], v[22:23]
	v_mul_f64_e32 v[16:17], v[12:13], v[22:23]
	s_delay_alu instid0(VALU_DEP_2) | instskip(NEXT) | instid1(VALU_DEP_2)
	v_fma_f64 v[14:15], v[2:3], v[20:21], -v[14:15]
	v_fma_f64 v[16:17], v[4:5], v[20:21], -v[16:17]
	v_mul_f64_e32 v[2:3], v[2:3], v[22:23]
	v_mul_f64_e32 v[4:5], v[4:5], v[22:23]
	global_store_b128 v[8:9], v[14:17], off offset:-8
	v_fmac_f64_e32 v[2:3], v[10:11], v[20:21]
	v_fmac_f64_e32 v[4:5], v[12:13], v[20:21]
	s_wait_xcnt 0x0
	v_mov_b64_e32 v[8:9], v[18:19]
	s_cbranch_scc1 .LBB41_27
	s_branch .LBB41_24
.LBB41_28:
	s_or_b32 exec_lo, exec_lo, s20
	s_delay_alu instid0(SALU_CYCLE_1)
	s_mov_b32 s5, exec_lo
	v_cmpx_gt_i32_e64 s6, v0
	s_cbranch_execz .LBB41_34
; %bb.29:
	s_load_b32 s10, s[0:1], 0x8c
	v_mul_lo_u32 v6, v0, s21
	s_wait_xcnt 0x0
	s_add_co_i32 s0, s4, -1
	s_cmp_gt_i32 s4, 1
	v_mov_b32_e32 v1, 0
	s_cselect_b32 s7, -1, 0
	s_lshl_b64 s[8:9], s[18:19], 3
	s_mov_b32 s5, 0
	s_add_nc_u64 s[8:9], s[16:17], s[8:9]
	s_ashr_i32 s1, s0, 31
	s_add_nc_u64 s[8:9], s[8:9], 32
	s_wait_kmcnt 0x0
	s_and_b32 s14, s10, 0xffff
	s_lshl_b64 s[10:11], s[4:5], 3
	s_mul_i32 s15, s21, s14
	s_branch .LBB41_31
.LBB41_30:                              ;   in Loop: Header=BB41_31 Depth=1
	v_dual_ashrrev_i32 v9, 31, v8 :: v_dual_add_nc_u32 v6, s15, v6
	v_add_nc_u32_e32 v0, s14, v0
	s_wait_xcnt 0x0
	s_delay_alu instid0(VALU_DEP_2) | instskip(NEXT) | instid1(VALU_DEP_2)
	v_lshl_add_u64 v[8:9], v[8:9], 4, s[2:3]
	v_cmp_le_i32_e32 vcc_lo, s6, v0
	s_delay_alu instid0(VALU_DEP_2)
	v_lshl_add_u64 v[8:9], s[0:1], 4, v[8:9]
	s_or_b32 s5, vcc_lo, s5
	s_wait_loadcnt 0x0
	global_store_b128 v[8:9], v[2:5], off
	s_wait_xcnt 0x0
	s_and_not1_b32 exec_lo, exec_lo, s5
	s_cbranch_execz .LBB41_34
.LBB41_31:                              ; =>This Loop Header: Depth=1
                                        ;     Child Loop BB41_33 Depth 2
	v_mul_lo_u32 v8, v0, s21
	s_and_not1_b32 vcc_lo, exec_lo, s7
	global_load_b128 v[2:5], v8, s[2:3] scale_offset
	s_cbranch_vccnz .LBB41_30
; %bb.32:                               ;   in Loop: Header=BB41_31 Depth=1
	v_ashrrev_i32_e32 v7, 31, v6
	s_mov_b32 s4, s0
	s_mov_b64 s[12:13], s[8:9]
	s_delay_alu instid0(VALU_DEP_1)
	v_lshl_add_u64 v[10:11], v[6:7], 4, s[2:3]
.LBB41_33:                              ;   Parent Loop BB41_31 Depth=1
                                        ; =>  This Inner Loop Header: Depth=2
	s_add_nc_u64 s[16:17], s[12:13], s[10:11]
	global_load_b128 v[12:15], v[10:11], off offset:16
	s_clause 0x1
	global_load_b64 v[20:21], v1, s[12:13]
	global_load_b64 v[22:23], v1, s[16:17]
	s_add_co_i32 s4, s4, -1
	s_wait_xcnt 0x1
	s_add_nc_u64 s[12:13], s[12:13], 8
	s_cmp_lg_u32 s4, 0
	s_wait_loadcnt 0x0
	v_mul_f64_e32 v[16:17], v[12:13], v[22:23]
	v_mul_f64_e32 v[18:19], v[14:15], v[22:23]
	s_delay_alu instid0(VALU_DEP_2) | instskip(NEXT) | instid1(VALU_DEP_2)
	v_fma_f64 v[16:17], v[2:3], v[20:21], -v[16:17]
	v_fma_f64 v[18:19], v[4:5], v[20:21], -v[18:19]
	v_mul_f64_e32 v[2:3], v[2:3], v[22:23]
	v_mul_f64_e32 v[4:5], v[4:5], v[22:23]
	global_store_b128 v[10:11], v[16:19], off
	v_fmac_f64_e32 v[2:3], v[12:13], v[20:21]
	v_fmac_f64_e32 v[4:5], v[14:15], v[20:21]
	v_add_nc_u64_e32 v[12:13], 16, v[10:11]
	s_wait_xcnt 0x0
	s_delay_alu instid0(VALU_DEP_1)
	v_mov_b64_e32 v[10:11], v[12:13]
	s_cbranch_scc1 .LBB41_33
	s_branch .LBB41_30
.LBB41_34:
	s_endpgm
	.section	.rodata,"a",@progbits
	.p2align	6, 0x0
	.amdhsa_kernel _ZN9rocsolver6v33100L17bdsqr_lower2upperI19rocblas_complex_numIdEdPS3_S4_EEviiiPT0_lS6_lT1_iilT2_iilPiS6_lS9_
		.amdhsa_group_segment_fixed_size 0
		.amdhsa_private_segment_fixed_size 0
		.amdhsa_kernarg_size 384
		.amdhsa_user_sgpr_count 2
		.amdhsa_user_sgpr_dispatch_ptr 0
		.amdhsa_user_sgpr_queue_ptr 0
		.amdhsa_user_sgpr_kernarg_segment_ptr 1
		.amdhsa_user_sgpr_dispatch_id 0
		.amdhsa_user_sgpr_kernarg_preload_length 0
		.amdhsa_user_sgpr_kernarg_preload_offset 0
		.amdhsa_user_sgpr_private_segment_size 0
		.amdhsa_wavefront_size32 1
		.amdhsa_uses_dynamic_stack 0
		.amdhsa_enable_private_segment 0
		.amdhsa_system_sgpr_workgroup_id_x 1
		.amdhsa_system_sgpr_workgroup_id_y 1
		.amdhsa_system_sgpr_workgroup_id_z 0
		.amdhsa_system_sgpr_workgroup_info 0
		.amdhsa_system_vgpr_workitem_id 0
		.amdhsa_next_free_vgpr 24
		.amdhsa_next_free_sgpr 36
		.amdhsa_named_barrier_count 0
		.amdhsa_reserve_vcc 1
		.amdhsa_float_round_mode_32 0
		.amdhsa_float_round_mode_16_64 0
		.amdhsa_float_denorm_mode_32 3
		.amdhsa_float_denorm_mode_16_64 3
		.amdhsa_fp16_overflow 0
		.amdhsa_memory_ordered 1
		.amdhsa_forward_progress 1
		.amdhsa_inst_pref_size 17
		.amdhsa_round_robin_scheduling 0
		.amdhsa_exception_fp_ieee_invalid_op 0
		.amdhsa_exception_fp_denorm_src 0
		.amdhsa_exception_fp_ieee_div_zero 0
		.amdhsa_exception_fp_ieee_overflow 0
		.amdhsa_exception_fp_ieee_underflow 0
		.amdhsa_exception_fp_ieee_inexact 0
		.amdhsa_exception_int_div_zero 0
	.end_amdhsa_kernel
	.section	.text._ZN9rocsolver6v33100L17bdsqr_lower2upperI19rocblas_complex_numIdEdPS3_S4_EEviiiPT0_lS6_lT1_iilT2_iilPiS6_lS9_,"axG",@progbits,_ZN9rocsolver6v33100L17bdsqr_lower2upperI19rocblas_complex_numIdEdPS3_S4_EEviiiPT0_lS6_lT1_iilT2_iilPiS6_lS9_,comdat
.Lfunc_end41:
	.size	_ZN9rocsolver6v33100L17bdsqr_lower2upperI19rocblas_complex_numIdEdPS3_S4_EEviiiPT0_lS6_lT1_iilT2_iilPiS6_lS9_, .Lfunc_end41-_ZN9rocsolver6v33100L17bdsqr_lower2upperI19rocblas_complex_numIdEdPS3_S4_EEviiiPT0_lS6_lT1_iilT2_iilPiS6_lS9_
                                        ; -- End function
	.set _ZN9rocsolver6v33100L17bdsqr_lower2upperI19rocblas_complex_numIdEdPS3_S4_EEviiiPT0_lS6_lT1_iilT2_iilPiS6_lS9_.num_vgpr, 24
	.set _ZN9rocsolver6v33100L17bdsqr_lower2upperI19rocblas_complex_numIdEdPS3_S4_EEviiiPT0_lS6_lT1_iilT2_iilPiS6_lS9_.num_agpr, 0
	.set _ZN9rocsolver6v33100L17bdsqr_lower2upperI19rocblas_complex_numIdEdPS3_S4_EEviiiPT0_lS6_lT1_iilT2_iilPiS6_lS9_.numbered_sgpr, 36
	.set _ZN9rocsolver6v33100L17bdsqr_lower2upperI19rocblas_complex_numIdEdPS3_S4_EEviiiPT0_lS6_lT1_iilT2_iilPiS6_lS9_.num_named_barrier, 0
	.set _ZN9rocsolver6v33100L17bdsqr_lower2upperI19rocblas_complex_numIdEdPS3_S4_EEviiiPT0_lS6_lT1_iilT2_iilPiS6_lS9_.private_seg_size, 0
	.set _ZN9rocsolver6v33100L17bdsqr_lower2upperI19rocblas_complex_numIdEdPS3_S4_EEviiiPT0_lS6_lT1_iilT2_iilPiS6_lS9_.uses_vcc, 1
	.set _ZN9rocsolver6v33100L17bdsqr_lower2upperI19rocblas_complex_numIdEdPS3_S4_EEviiiPT0_lS6_lT1_iilT2_iilPiS6_lS9_.uses_flat_scratch, 0
	.set _ZN9rocsolver6v33100L17bdsqr_lower2upperI19rocblas_complex_numIdEdPS3_S4_EEviiiPT0_lS6_lT1_iilT2_iilPiS6_lS9_.has_dyn_sized_stack, 0
	.set _ZN9rocsolver6v33100L17bdsqr_lower2upperI19rocblas_complex_numIdEdPS3_S4_EEviiiPT0_lS6_lT1_iilT2_iilPiS6_lS9_.has_recursion, 0
	.set _ZN9rocsolver6v33100L17bdsqr_lower2upperI19rocblas_complex_numIdEdPS3_S4_EEviiiPT0_lS6_lT1_iilT2_iilPiS6_lS9_.has_indirect_call, 0
	.section	.AMDGPU.csdata,"",@progbits
; Kernel info:
; codeLenInByte = 2160
; TotalNumSgprs: 38
; NumVgprs: 24
; ScratchSize: 0
; MemoryBound: 0
; FloatMode: 240
; IeeeMode: 1
; LDSByteSize: 0 bytes/workgroup (compile time only)
; SGPRBlocks: 0
; VGPRBlocks: 1
; NumSGPRsForWavesPerEU: 38
; NumVGPRsForWavesPerEU: 24
; NamedBarCnt: 0
; Occupancy: 16
; WaveLimiterHint : 0
; COMPUTE_PGM_RSRC2:SCRATCH_EN: 0
; COMPUTE_PGM_RSRC2:USER_SGPR: 2
; COMPUTE_PGM_RSRC2:TRAP_HANDLER: 0
; COMPUTE_PGM_RSRC2:TGID_X_EN: 1
; COMPUTE_PGM_RSRC2:TGID_Y_EN: 1
; COMPUTE_PGM_RSRC2:TGID_Z_EN: 0
; COMPUTE_PGM_RSRC2:TIDIG_COMP_CNT: 0
	.section	.text._ZN9rocsolver6v33100L13bdsqr_computeILi256E19rocblas_complex_numIdEdPS3_S4_S4_EEviiiiPT1_lS6_lT2_iilT3_iilT4_iiliS5_S5_S5_S5_PiS6_ilSA_,"axG",@progbits,_ZN9rocsolver6v33100L13bdsqr_computeILi256E19rocblas_complex_numIdEdPS3_S4_S4_EEviiiiPT1_lS6_lT2_iilT3_iilT4_iiliS5_S5_S5_S5_PiS6_ilSA_,comdat
	.globl	_ZN9rocsolver6v33100L13bdsqr_computeILi256E19rocblas_complex_numIdEdPS3_S4_S4_EEviiiiPT1_lS6_lT2_iilT3_iilT4_iiliS5_S5_S5_S5_PiS6_ilSA_ ; -- Begin function _ZN9rocsolver6v33100L13bdsqr_computeILi256E19rocblas_complex_numIdEdPS3_S4_S4_EEviiiiPT1_lS6_lT2_iilT3_iilT4_iiliS5_S5_S5_S5_PiS6_ilSA_
	.p2align	8
	.type	_ZN9rocsolver6v33100L13bdsqr_computeILi256E19rocblas_complex_numIdEdPS3_S4_S4_EEviiiiPT1_lS6_lT2_iilT3_iilT4_iiliS5_S5_S5_S5_PiS6_ilSA_,@function
_ZN9rocsolver6v33100L13bdsqr_computeILi256E19rocblas_complex_numIdEdPS3_S4_S4_EEviiiiPT1_lS6_lT2_iilT3_iilT4_iiliS5_S5_S5_S5_PiS6_ilSA_: ; @_ZN9rocsolver6v33100L13bdsqr_computeILi256E19rocblas_complex_numIdEdPS3_S4_S4_EEviiiiPT1_lS6_lT2_iilT3_iilT4_iiliS5_S5_S5_S5_PiS6_ilSA_
; %bb.0:
	s_load_b128 s[4:7], s[0:1], 0xb8
	s_bfe_u32 s2, ttmp6, 0x40014
	s_lshr_b32 s3, ttmp7, 16
	s_add_co_i32 s2, s2, 1
	s_bfe_u32 s9, ttmp6, 0x40008
	s_mul_i32 s8, s3, s2
	s_getreg_b32 s2, hwreg(HW_REG_IB_STS2, 6, 4)
	s_add_co_i32 s9, s9, s8
	s_cmp_eq_u32 s2, 0
	s_mov_b32 s45, 0
	s_cselect_b32 s44, s3, s9
	s_wait_kmcnt 0x0
	s_load_b32 s3, s[6:7], s44 offset:0x8 scale_offset
	s_wait_kmcnt 0x0
	s_cmp_lg_u32 s3, 0
	s_cbranch_scc1 .LBB42_171
; %bb.1:
	s_load_b256 s[8:15], s[0:1], 0x30
	s_mov_b64 s[34:35], 0
	s_mov_b64 s[36:37], 0
	s_wait_kmcnt 0x0
	s_cmp_eq_u64 s[8:9], 0
	s_cbranch_scc1 .LBB42_3
; %bb.2:
	s_mul_u64 s[6:7], s[12:13], s[44:45]
	s_ashr_i32 s13, s10, 31
	s_lshl_b64 s[6:7], s[6:7], 4
	s_mov_b32 s12, s10
	s_add_nc_u64 s[6:7], s[8:9], s[6:7]
	s_lshl_b64 s[8:9], s[12:13], 4
	s_delay_alu instid0(SALU_CYCLE_1)
	s_add_nc_u64 s[36:37], s[6:7], s[8:9]
.LBB42_3:
	s_clause 0x1
	s_load_b64 s[8:9], s[0:1], 0x50
	s_load_b128 s[16:19], s[0:1], 0x58
	s_cmp_eq_u64 s[14:15], 0
	s_cbranch_scc1 .LBB42_5
; %bb.4:
	s_wait_kmcnt 0x0
	s_mul_u64 s[6:7], s[16:17], s[44:45]
	s_ashr_i32 s13, s8, 31
	s_lshl_b64 s[6:7], s[6:7], 4
	s_mov_b32 s12, s8
	s_add_nc_u64 s[6:7], s[14:15], s[6:7]
	s_lshl_b64 s[12:13], s[12:13], 4
	s_delay_alu instid0(SALU_CYCLE_1)
	s_add_nc_u64 s[34:35], s[6:7], s[12:13]
.LBB42_5:
	s_load_b64 s[38:39], s[0:1], 0x68
	s_wait_kmcnt 0x0
	s_cmp_eq_u64 s[18:19], 0
	s_mov_b64 s[40:41], 0
	s_cbranch_scc1 .LBB42_7
; %bb.6:
	s_load_b64 s[6:7], s[0:1], 0x70
	s_ashr_i32 s13, s38, 31
	s_mov_b32 s12, s38
	s_delay_alu instid0(SALU_CYCLE_1) | instskip(SKIP_2) | instid1(SALU_CYCLE_1)
	s_lshl_b64 s[12:13], s[12:13], 4
	s_wait_kmcnt 0x0
	s_mul_u64 s[6:7], s[6:7], s[44:45]
	s_lshl_b64 s[6:7], s[6:7], 4
	s_delay_alu instid0(SALU_CYCLE_1) | instskip(NEXT) | instid1(SALU_CYCLE_1)
	s_add_nc_u64 s[6:7], s[18:19], s[6:7]
	s_add_nc_u64 s[40:41], s[6:7], s[12:13]
.LBB42_7:
	s_load_b256 s[12:19], s[0:1], 0x90
	s_bfe_u32 s3, ttmp6, 0x40010
	s_and_b32 s6, ttmp7, 0xffff
	s_add_co_i32 s3, s3, 1
	s_bfe_u32 s7, ttmp6, 0x40004
	s_mul_i32 s3, s6, s3
	s_delay_alu instid0(SALU_CYCLE_1)
	s_add_co_i32 s7, s7, s3
	s_cmp_eq_u32 s2, 0
	s_mul_u64 s[2:3], s[4:5], s[44:45]
	s_cselect_b32 s8, s6, s7
	s_lshl_b64 s[2:3], s[2:3], 3
	s_wait_kmcnt 0x0
	s_add_nc_u64 s[18:19], s[18:19], s[2:3]
	s_load_b64 s[2:3], s[18:19], 0x10
	s_wait_kmcnt 0x0
	v_cvt_i32_f64_e32 v1, s[2:3]
	s_delay_alu instid0(VALU_DEP_1)
	v_cmp_ge_i32_e32 vcc_lo, s8, v1
	s_cbranch_vccnz .LBB42_171
; %bb.8:
	s_clause 0x3
	s_load_b128 s[28:31], s[0:1], 0x0
	s_load_b256 s[20:27], s[0:1], 0x10
	s_load_b32 s10, s[0:1], 0x78
	s_load_b64 s[6:7], s[0:1], 0x80
                                        ; implicit-def: $vgpr40 : SGPR spill to VGPR lane
	s_add_nc_u64 s[42:43], s[0:1], 0xc8
	s_clause 0x1
	s_load_b32 s33, s[0:1], 0xb0
	s_load_b32 s38, s[0:1], 0xcc
	v_dual_mov_b32 v7, 0 :: v_dual_lshlrev_b32 v6, 3, v0
	v_mul_lo_u32 v24, v0, s11
	v_mul_lo_u32 v25, v0, s39
	v_mov_b64_e32 v[8:9], 0
	v_cmp_gt_u32_e64 s2, 0x80, v0
	v_cmp_gt_u32_e64 s3, 64, v0
	;; [unrolled: 1-line block ×3, first 2 shown]
	v_cmp_eq_u32_e64 s5, 0, v0
	v_mov_b32_e32 v26, 1
	s_add_nc_u64 s[46:47], s[18:19], 24
	s_add_nc_u64 s[54:55], s[40:41], 8
	s_wait_kmcnt 0x0
	s_mul_u64 s[0:1], s[22:23], s[44:45]
	v_writelane_b32 v40, s6, 0
	s_mul_u64 s[22:23], s[26:27], s[44:45]
	s_lshl_b64 s[26:27], s[0:1], 3
	v_cmp_gt_i32_e64 s1, s30, v0
	s_add_nc_u64 s[20:21], s[20:21], s[26:27]
	v_writelane_b32 v40, s7, 1
	s_mul_i32 s6, s44, s28
	s_lshl_b64 s[44:45], s[22:23], 3
	s_lshl_b32 s6, s6, 1
	s_add_nc_u64 s[26:27], s[24:25], s[44:45]
	s_ashr_i32 s7, s6, 31
	s_add_nc_u64 s[24:25], s[24:25], -8
	s_lshl_b64 s[48:49], s[6:7], 2
	s_cmp_lg_u32 s29, 0
	v_add_nc_u64_e32 v[10:11], s[20:21], v[6:7]
	s_cselect_b32 s28, -1, 0
	s_or_b32 s0, s31, s30
	v_add_nc_u64_e32 v[12:13], s[26:27], v[6:7]
	s_cmp_eq_u32 s0, 0
	v_cmp_gt_i32_e64 s0, s29, v0
	s_cselect_b32 s104, -1, 0
	s_cmp_lg_u64 s[36:37], 0
	v_cmp_gt_i32_e64 s6, s31, v0
	s_cselect_b32 s7, -1, 0
	s_add_nc_u64 s[16:17], s[16:17], s[48:49]
	s_and_b32 vcc_hi, s28, s7
	s_cmp_lg_u64 s[34:35], 0
	s_cselect_b32 s7, -1, 0
	s_cmp_lg_u32 s30, 0
	s_cselect_b32 s44, -1, 0
	s_delay_alu instid0(SALU_CYCLE_1)
	s_and_b32 s50, s44, s7
	s_add_nc_u64 s[44:45], s[20:21], -8
	s_cmp_lg_u64 s[40:41], 0
	v_writelane_b32 v40, s44, 2
	s_cselect_b32 s7, -1, 0
	s_cmp_lg_u32 s31, 0
	v_writelane_b32 v40, s45, 3
	s_cselect_b32 s44, -1, 0
	s_delay_alu instid0(SALU_CYCLE_1) | instskip(SKIP_3) | instid1(SALU_CYCLE_1)
	s_and_b32 s51, s44, s7
	v_writelane_b32 v40, s24, 4
	v_writelane_b32 v40, s25, 5
	s_add_nc_u64 s[24:25], s[26:27], -8
	v_writelane_b32 v40, s24, 6
	v_writelane_b32 v40, s25, 7
	s_add_nc_u64 s[24:25], s[36:37], 8
	s_delay_alu instid0(SALU_CYCLE_1)
	v_writelane_b32 v40, s24, 8
	v_writelane_b32 v40, s25, 9
	s_branch .LBB42_11
.LBB42_9:                               ;   in Loop: Header=BB42_11 Depth=1
	s_or_b32 exec_lo, exec_lo, s7
.LBB42_10:                              ;   in Loop: Header=BB42_11 Depth=1
	s_add_co_i32 s8, s38, s8
	s_delay_alu instid0(SALU_CYCLE_1)
	v_cmp_lt_i32_e32 vcc_lo, s8, v1
	s_cbranch_vccz .LBB42_171
.LBB42_11:                              ; =>This Loop Header: Depth=1
                                        ;     Child Loop BB42_15 Depth 2
                                        ;     Child Loop BB42_40 Depth 2
	;; [unrolled: 1-line block ×5, first 2 shown]
                                        ;       Child Loop BB42_155 Depth 3
                                        ;     Child Loop BB42_160 Depth 2
                                        ;       Child Loop BB42_161 Depth 3
                                        ;     Child Loop BB42_166 Depth 2
                                        ;       Child Loop BB42_167 Depth 3
	s_lshl_b32 s24, s8, 2
	s_delay_alu instid0(SALU_CYCLE_1) | instskip(NEXT) | instid1(SALU_CYCLE_1)
	s_ashr_i32 s25, s24, 31
	s_lshl_b64 s[24:25], s[24:25], 2
	s_wait_xcnt 0x0
	s_add_nc_u64 s[66:67], s[16:17], s[24:25]
	global_load_b64 v[2:3], v7, s[66:67] offset:4
	s_wait_loadcnt 0x0
	v_readfirstlane_b32 s58, v3
	v_readfirstlane_b32 s60, v2
	s_cmp_le_i32 s58, s60
	s_cbranch_scc1 .LBB42_10
; %bb.12:                               ;   in Loop: Header=BB42_11 Depth=1
	global_load_b32 v2, v7, s[66:67] offset:12
	s_wait_loadcnt 0x0
	v_cmp_le_i32_e32 vcc_lo, s10, v2
	s_cbranch_vccnz .LBB42_10
; %bb.13:                               ;   in Loop: Header=BB42_11 Depth=1
	v_mov_b64_e32 v[2:3], 0
	s_sub_co_i32 s56, s58, s60
	s_ashr_i32 s61, s60, 31
	s_mov_b32 s24, exec_lo
	s_wait_xcnt 0x0
	v_cmpx_ge_i32_e64 s56, v0
	s_cbranch_execz .LBB42_17
; %bb.14:                               ;   in Loop: Header=BB42_11 Depth=1
	v_mov_b64_e32 v[2:3], 0
	v_lshl_add_u64 v[4:5], s[60:61], 3, v[10:11]
	v_mov_b32_e32 v14, v0
	s_mov_b32 s25, 0
.LBB42_15:                              ;   Parent Loop BB42_11 Depth=1
                                        ; =>  This Inner Loop Header: Depth=2
	global_load_b64 v[16:17], v[4:5], off
	s_wait_xcnt 0x0
	v_add_nc_u64_e32 v[4:5], 0x800, v[4:5]
	s_wait_loadcnt 0x0
	v_cmp_lt_f64_e64 vcc_lo, v[2:3], |v[16:17]|
	v_and_b32_e32 v15, 0x7fffffff, v17
	s_delay_alu instid0(VALU_DEP_1) | instskip(NEXT) | instid1(VALU_DEP_1)
	v_dual_cndmask_b32 v3, v3, v15 :: v_dual_add_nc_u32 v14, 0x100, v14
	v_cmp_lt_i32_e64 s7, s56, v14
	v_cndmask_b32_e32 v2, v2, v16, vcc_lo
	s_or_b32 s25, s7, s25
	s_delay_alu instid0(SALU_CYCLE_1)
	s_and_not1_b32 exec_lo, exec_lo, s25
	s_cbranch_execnz .LBB42_15
; %bb.16:                               ;   in Loop: Header=BB42_11 Depth=1
	s_or_b32 exec_lo, exec_lo, s25
.LBB42_17:                              ;   in Loop: Header=BB42_11 Depth=1
	s_delay_alu instid0(SALU_CYCLE_1)
	s_or_b32 exec_lo, exec_lo, s24
	ds_store_b64 v6, v[2:3]
	s_wait_dscnt 0x0
	s_barrier_signal -1
	s_barrier_wait -1
	s_and_saveexec_b32 s7, s2
	s_cbranch_execz .LBB42_21
; %bb.18:                               ;   in Loop: Header=BB42_11 Depth=1
	ds_load_b64 v[4:5], v6 offset:1024
	s_mov_b32 s24, exec_lo
	s_wait_dscnt 0x0
	v_cmpx_lt_f64_e32 v[2:3], v[4:5]
; %bb.19:                               ;   in Loop: Header=BB42_11 Depth=1
	v_mov_b64_e32 v[2:3], v[4:5]
	ds_store_b64 v6, v[4:5]
; %bb.20:                               ;   in Loop: Header=BB42_11 Depth=1
	s_or_b32 exec_lo, exec_lo, s24
.LBB42_21:                              ;   in Loop: Header=BB42_11 Depth=1
	s_delay_alu instid0(SALU_CYCLE_1)
	s_or_b32 exec_lo, exec_lo, s7
	s_wait_dscnt 0x0
	s_barrier_signal -1
	s_barrier_wait -1
	s_and_saveexec_b32 s7, s3
	s_cbranch_execz .LBB42_25
; %bb.22:                               ;   in Loop: Header=BB42_11 Depth=1
	ds_load_b64 v[4:5], v6 offset:512
	s_mov_b32 s24, exec_lo
	s_wait_dscnt 0x0
	v_cmpx_lt_f64_e32 v[2:3], v[4:5]
; %bb.23:                               ;   in Loop: Header=BB42_11 Depth=1
	v_mov_b64_e32 v[2:3], v[4:5]
	ds_store_b64 v6, v[4:5]
; %bb.24:                               ;   in Loop: Header=BB42_11 Depth=1
	s_or_b32 exec_lo, exec_lo, s24
.LBB42_25:                              ;   in Loop: Header=BB42_11 Depth=1
	s_delay_alu instid0(SALU_CYCLE_1)
	s_or_b32 exec_lo, exec_lo, s7
	s_wait_dscnt 0x0
	s_barrier_signal -1
	s_barrier_wait -1
	s_and_saveexec_b32 s7, s4
	s_cbranch_execz .LBB42_38
; %bb.26:                               ;   in Loop: Header=BB42_11 Depth=1
	ds_load_b64 v[4:5], v6 offset:256
	s_mov_b32 s24, exec_lo
	s_wait_dscnt 0x0
	v_cmpx_lt_f64_e32 v[2:3], v[4:5]
; %bb.27:                               ;   in Loop: Header=BB42_11 Depth=1
	v_mov_b64_e32 v[2:3], v[4:5]
	ds_store_b64 v6, v[4:5]
; %bb.28:                               ;   in Loop: Header=BB42_11 Depth=1
	s_or_b32 exec_lo, exec_lo, s24
	ds_load_b64 v[4:5], v6 offset:128
	s_mov_b32 s24, exec_lo
	s_wait_dscnt 0x0
	v_cmpx_lt_f64_e32 v[2:3], v[4:5]
; %bb.29:                               ;   in Loop: Header=BB42_11 Depth=1
	v_mov_b64_e32 v[2:3], v[4:5]
	ds_store_b64 v6, v[4:5]
; %bb.30:                               ;   in Loop: Header=BB42_11 Depth=1
	s_or_b32 exec_lo, exec_lo, s24
	;; [unrolled: 9-line block ×5, first 2 shown]
	ds_load_b64 v[4:5], v6 offset:8
	s_wait_dscnt 0x0
	v_cmp_lt_f64_e32 vcc_lo, v[2:3], v[4:5]
	s_and_b32 exec_lo, exec_lo, vcc_lo
; %bb.37:                               ;   in Loop: Header=BB42_11 Depth=1
	ds_store_b64 v6, v[4:5]
.LBB42_38:                              ;   in Loop: Header=BB42_11 Depth=1
	s_or_b32 exec_lo, exec_lo, s7
	v_mov_b64_e32 v[2:3], 0
	s_mov_b32 s24, exec_lo
	s_wait_dscnt 0x0
	s_barrier_signal -1
	s_barrier_wait -1
	v_cmpx_gt_i32_e64 s56, v0
	s_cbranch_execz .LBB42_42
; %bb.39:                               ;   in Loop: Header=BB42_11 Depth=1
	v_mov_b64_e32 v[2:3], 0
	v_lshl_add_u64 v[4:5], s[60:61], 3, v[12:13]
	v_mov_b32_e32 v14, v0
	s_mov_b32 s25, 0
.LBB42_40:                              ;   Parent Loop BB42_11 Depth=1
                                        ; =>  This Inner Loop Header: Depth=2
	global_load_b64 v[16:17], v[4:5], off
	s_wait_xcnt 0x0
	v_add_nc_u64_e32 v[4:5], 0x800, v[4:5]
	s_wait_loadcnt 0x0
	v_cmp_lt_f64_e64 vcc_lo, v[2:3], |v[16:17]|
	v_and_b32_e32 v15, 0x7fffffff, v17
	s_delay_alu instid0(VALU_DEP_1) | instskip(NEXT) | instid1(VALU_DEP_1)
	v_dual_cndmask_b32 v3, v3, v15 :: v_dual_add_nc_u32 v14, 0x100, v14
	v_cmp_le_i32_e64 s7, s56, v14
	v_cndmask_b32_e32 v2, v2, v16, vcc_lo
	s_or_b32 s25, s7, s25
	s_delay_alu instid0(SALU_CYCLE_1)
	s_and_not1_b32 exec_lo, exec_lo, s25
	s_cbranch_execnz .LBB42_40
; %bb.41:                               ;   in Loop: Header=BB42_11 Depth=1
	s_or_b32 exec_lo, exec_lo, s25
.LBB42_42:                              ;   in Loop: Header=BB42_11 Depth=1
	s_delay_alu instid0(SALU_CYCLE_1)
	s_or_b32 exec_lo, exec_lo, s24
	s_cmp_lt_i32 s56, 2
	ds_store_b64 v6, v[2:3] offset:8
	s_wait_dscnt 0x0
	s_barrier_signal -1
	s_barrier_wait -1
	s_cbranch_scc1 .LBB42_65
; %bb.43:                               ;   in Loop: Header=BB42_11 Depth=1
	s_and_saveexec_b32 s7, s2
	s_cbranch_execz .LBB42_47
; %bb.44:                               ;   in Loop: Header=BB42_11 Depth=1
	ds_load_b64 v[4:5], v6 offset:1032
	s_mov_b32 s24, exec_lo
	s_wait_dscnt 0x0
	v_cmpx_lt_f64_e32 v[2:3], v[4:5]
; %bb.45:                               ;   in Loop: Header=BB42_11 Depth=1
	v_mov_b64_e32 v[2:3], v[4:5]
	ds_store_b64 v6, v[4:5] offset:8
; %bb.46:                               ;   in Loop: Header=BB42_11 Depth=1
	s_or_b32 exec_lo, exec_lo, s24
.LBB42_47:                              ;   in Loop: Header=BB42_11 Depth=1
	s_delay_alu instid0(SALU_CYCLE_1)
	s_or_b32 exec_lo, exec_lo, s7
	s_wait_dscnt 0x0
	s_barrier_signal -1
	s_barrier_wait -1
	s_and_saveexec_b32 s7, s3
	s_cbranch_execz .LBB42_51
; %bb.48:                               ;   in Loop: Header=BB42_11 Depth=1
	ds_load_b64 v[4:5], v6 offset:520
	s_mov_b32 s24, exec_lo
	s_wait_dscnt 0x0
	v_cmpx_lt_f64_e32 v[2:3], v[4:5]
; %bb.49:                               ;   in Loop: Header=BB42_11 Depth=1
	v_mov_b64_e32 v[2:3], v[4:5]
	ds_store_b64 v6, v[4:5] offset:8
; %bb.50:                               ;   in Loop: Header=BB42_11 Depth=1
	s_or_b32 exec_lo, exec_lo, s24
.LBB42_51:                              ;   in Loop: Header=BB42_11 Depth=1
	s_delay_alu instid0(SALU_CYCLE_1)
	s_or_b32 exec_lo, exec_lo, s7
	s_wait_dscnt 0x0
	s_barrier_signal -1
	s_barrier_wait -1
	s_and_saveexec_b32 s7, s4
	s_cbranch_execz .LBB42_64
; %bb.52:                               ;   in Loop: Header=BB42_11 Depth=1
	ds_load_b64 v[4:5], v6 offset:264
	s_mov_b32 s24, exec_lo
	s_wait_dscnt 0x0
	v_cmpx_lt_f64_e32 v[2:3], v[4:5]
; %bb.53:                               ;   in Loop: Header=BB42_11 Depth=1
	v_mov_b64_e32 v[2:3], v[4:5]
	ds_store_b64 v6, v[4:5] offset:8
; %bb.54:                               ;   in Loop: Header=BB42_11 Depth=1
	s_or_b32 exec_lo, exec_lo, s24
	ds_load_b64 v[4:5], v6 offset:136
	s_mov_b32 s24, exec_lo
	s_wait_dscnt 0x0
	v_cmpx_lt_f64_e32 v[2:3], v[4:5]
; %bb.55:                               ;   in Loop: Header=BB42_11 Depth=1
	v_mov_b64_e32 v[2:3], v[4:5]
	ds_store_b64 v6, v[4:5] offset:8
; %bb.56:                               ;   in Loop: Header=BB42_11 Depth=1
	s_or_b32 exec_lo, exec_lo, s24
	;; [unrolled: 9-line block ×5, first 2 shown]
	ds_load_b64 v[4:5], v6 offset:16
	s_wait_dscnt 0x0
	v_cmp_lt_f64_e32 vcc_lo, v[2:3], v[4:5]
	s_and_b32 exec_lo, exec_lo, vcc_lo
; %bb.63:                               ;   in Loop: Header=BB42_11 Depth=1
	ds_store_b64 v6, v[4:5] offset:8
.LBB42_64:                              ;   in Loop: Header=BB42_11 Depth=1
	s_or_b32 exec_lo, exec_lo, s7
.LBB42_65:                              ;   in Loop: Header=BB42_11 Depth=1
	s_lshl_b64 s[62:63], s[60:61], 3
	s_wait_dscnt 0x0
	s_add_nc_u64 s[70:71], s[26:27], s[62:63]
	s_add_nc_u64 s[76:77], s[20:21], s[62:63]
	s_barrier_signal -1
	s_barrier_wait -1
	s_and_saveexec_b32 s24, s5
	s_cbranch_execz .LBB42_79
; %bb.66:                               ;   in Loop: Header=BB42_11 Depth=1
	v_mov_b32_e32 v4, s58
	s_ashr_i32 s57, s56, 31
	s_clause 0x1
	global_load_b64 v[2:3], v7, s[76:77]
	global_load_b64 v[4:5], v4, s[20:21] scale_offset
	s_lshl_b64 s[44:45], s[56:57], 3
	s_delay_alu instid0(SALU_CYCLE_1)
	s_add_nc_u64 s[44:45], s[76:77], s[44:45]
	s_wait_loadcnt 0x0
	v_cmp_ge_f64_e64 s7, |v[2:3]|, |v[4:5]|
	v_and_b32_e32 v3, 0x7fffffff, v3
	v_and_b32_e32 v5, 0x7fffffff, v5
	s_and_b32 s25, s7, exec_lo
	s_cselect_b32 s45, s77, s45
	s_cselect_b32 s44, s76, s44
	v_cndmask_b32_e64 v18, 0, 1, s7
	global_load_b64 v[14:15], v7, s[44:45]
	s_not_b32 s25, s60
	s_wait_xcnt 0x0
	s_mov_b32 s45, 0
	s_add_co_i32 s25, s25, s58
	ds_store_b32 v7, v18 offset:2064
	s_wait_loadcnt 0x0
	v_and_b32_e32 v15, 0x7fffffff, v15
	s_delay_alu instid0(VALU_DEP_1)
	v_mov_b64_e32 v[16:17], v[14:15]
	s_branch .LBB42_68
.LBB42_67:                              ;   in Loop: Header=BB42_68 Depth=2
	s_wait_xcnt 0x0
	v_add_f64_e64 v[18:19], v[16:17], |v[18:19]|
	s_add_co_i32 s45, s45, 1
	s_and_b32 s48, s7, exec_lo
	s_cselect_b32 s48, s45, s25
	s_add_co_i32 s25, s25, -1
	s_delay_alu instid0(SALU_CYCLE_1) | instskip(SKIP_1) | instid1(VALU_DEP_1)
	s_cmp_eq_u32 s25, -1
	s_cselect_b32 s49, -1, 0
	v_div_scale_f64 v[20:21], null, v[18:19], v[18:19], v[16:17]
	s_delay_alu instid0(VALU_DEP_1) | instskip(SKIP_1) | instid1(TRANS32_DEP_1)
	v_rcp_f64_e32 v[28:29], v[20:21]
	v_nop
	v_fma_f64 v[30:31], -v[20:21], v[28:29], 1.0
	s_delay_alu instid0(VALU_DEP_1) | instskip(NEXT) | instid1(VALU_DEP_1)
	v_fmac_f64_e32 v[28:29], v[28:29], v[30:31]
	v_fma_f64 v[30:31], -v[20:21], v[28:29], 1.0
	s_delay_alu instid0(VALU_DEP_1) | instskip(SKIP_3) | instid1(VALU_DEP_2)
	v_fmac_f64_e32 v[28:29], v[28:29], v[30:31]
	v_div_scale_f64 v[30:31], vcc_lo, v[16:17], v[18:19], v[16:17]
	v_mov_b32_e32 v22, s48
	s_mov_b32 s48, 0
	v_mul_f64_e32 v[32:33], v[30:31], v[28:29]
	global_load_b64 v[22:23], v22, s[76:77] scale_offset
	v_fma_f64 v[20:21], -v[20:21], v[32:33], v[30:31]
	s_delay_alu instid0(VALU_DEP_1) | instskip(NEXT) | instid1(VALU_DEP_1)
	v_div_fmas_f64 v[20:21], v[20:21], v[28:29], v[32:33]
	v_div_fixup_f64 v[16:17], v[20:21], v[18:19], v[16:17]
	s_wait_loadcnt 0x0
	s_delay_alu instid0(VALU_DEP_1) | instskip(NEXT) | instid1(VALU_DEP_1)
	v_mul_f64_e64 v[16:17], v[16:17], |v[22:23]|
	v_cmp_lt_f64_e32 vcc_lo, v[16:17], v[14:15]
	v_dual_cndmask_b32 v15, v15, v17 :: v_dual_cndmask_b32 v14, v14, v16
	s_and_not1_b32 vcc_lo, exec_lo, s49
	s_cbranch_vccz .LBB42_70
.LBB42_68:                              ;   Parent Loop BB42_11 Depth=1
                                        ; =>  This Inner Loop Header: Depth=2
	s_and_b32 s44, s7, exec_lo
	s_cselect_b32 s44, s45, s25
	s_wait_xcnt 0x0
	s_delay_alu instid0(VALU_DEP_1)
	v_dual_mul_f64 v[20:21], s[12:13], v[16:17] :: v_dual_mov_b32 v18, s44
	global_load_b64 v[18:19], v18, s[70:71] scale_offset
	s_wait_loadcnt 0x0
	v_cmp_nle_f64_e64 s48, |v[18:19]|, v[20:21]
	s_and_b32 vcc_lo, exec_lo, s48
	s_cbranch_vccnz .LBB42_67
; %bb.69:                               ;   in Loop: Header=BB42_11 Depth=1
	s_mov_b32 s48, -1
                                        ; implicit-def: $vgpr16_vgpr17
                                        ; implicit-def: $sgpr25
                                        ; implicit-def: $sgpr45
                                        ; implicit-def: $vgpr14_vgpr15
.LBB42_70:                              ;   in Loop: Header=BB42_11 Depth=1
	s_delay_alu instid0(SALU_CYCLE_1)
	s_and_b32 vcc_lo, exec_lo, s48
	s_cbranch_vccz .LBB42_72
; %bb.71:                               ;   in Loop: Header=BB42_11 Depth=1
	v_mov_b64_e32 v[14:15], -1.0
	s_ashr_i32 s45, s44, 31
	s_delay_alu instid0(SALU_CYCLE_1) | instskip(NEXT) | instid1(SALU_CYCLE_1)
	s_lshl_b64 s[44:45], s[44:45], 3
	s_add_nc_u64 s[44:45], s[70:71], s[44:45]
	global_store_b64 v7, v[8:9], s[44:45]
.LBB42_72:                              ;   in Loop: Header=BB42_11 Depth=1
	v_cmp_nle_f64_e32 vcc_lo, 0, v[14:15]
	ds_store_b64 v7, v[14:15] offset:2056
	ds_store_b8 v7, v7 offset:2068
	s_cbranch_vccnz .LBB42_79
; %bb.73:                               ;   in Loop: Header=BB42_11 Depth=1
	s_wait_xcnt 0x0
	ds_load_b128 v[16:19], v7
	s_mov_b32 s25, -1
	s_wait_dscnt 0x0
	v_cmp_lt_f64_e32 vcc_lo, v[16:17], v[18:19]
	v_dual_cndmask_b32 v17, v17, v19 :: v_dual_cndmask_b32 v16, v16, v18
	s_delay_alu instid0(VALU_DEP_1) | instskip(NEXT) | instid1(VALU_DEP_1)
	v_div_scale_f64 v[18:19], null, v[16:17], v[16:17], v[14:15]
	v_rcp_f64_e32 v[20:21], v[18:19]
	v_nop
	s_delay_alu instid0(TRANS32_DEP_1) | instskip(NEXT) | instid1(VALU_DEP_1)
	v_fma_f64 v[22:23], -v[18:19], v[20:21], 1.0
	v_fmac_f64_e32 v[20:21], v[20:21], v[22:23]
	s_delay_alu instid0(VALU_DEP_1) | instskip(NEXT) | instid1(VALU_DEP_1)
	v_fma_f64 v[22:23], -v[18:19], v[20:21], 1.0
	v_fmac_f64_e32 v[20:21], v[20:21], v[22:23]
	v_div_scale_f64 v[22:23], vcc_lo, v[14:15], v[16:17], v[14:15]
	s_delay_alu instid0(VALU_DEP_1) | instskip(NEXT) | instid1(VALU_DEP_1)
	v_mul_f64_e32 v[28:29], v[22:23], v[20:21]
	v_fma_f64 v[18:19], -v[18:19], v[28:29], v[22:23]
	s_delay_alu instid0(VALU_DEP_1) | instskip(NEXT) | instid1(VALU_DEP_1)
	v_div_fmas_f64 v[18:19], v[18:19], v[20:21], v[28:29]
	v_div_fixup_f64 v[16:17], v[18:19], v[16:17], v[14:15]
	s_delay_alu instid0(VALU_DEP_1)
	v_cmp_ge_f64_e32 vcc_lo, s[14:15], v[16:17]
	s_cbranch_vccnz .LBB42_76
; %bb.74:                               ;   in Loop: Header=BB42_11 Depth=1
	v_dual_cndmask_b32 v3, v5, v3, s7 :: v_dual_cndmask_b32 v2, v4, v2, s7
	s_mov_b32 s25, 0
	s_delay_alu instid0(VALU_DEP_1)
	v_cmp_lt_f64_e32 vcc_lo, 0, v[2:3]
	s_cbranch_vccz .LBB42_76
; %bb.75:                               ;   in Loop: Header=BB42_11 Depth=1
	v_mul_f64_e32 v[4:5], v[14:15], v[14:15]
	s_wait_xcnt 0x0
	v_readlane_b32 s44, v40, 0
	v_readlane_b32 s45, v40, 1
	s_delay_alu instid0(VALU_DEP_3) | instskip(SKIP_1) | instid1(VALU_DEP_2)
	v_div_scale_f64 v[14:15], null, v[2:3], v[2:3], v[4:5]
	v_div_scale_f64 v[20:21], vcc_lo, v[4:5], v[2:3], v[4:5]
	v_rcp_f64_e32 v[16:17], v[14:15]
	v_nop
	s_delay_alu instid0(TRANS32_DEP_1) | instskip(NEXT) | instid1(VALU_DEP_1)
	v_fma_f64 v[18:19], -v[14:15], v[16:17], 1.0
	v_fmac_f64_e32 v[16:17], v[16:17], v[18:19]
	s_delay_alu instid0(VALU_DEP_1) | instskip(NEXT) | instid1(VALU_DEP_1)
	v_fma_f64 v[18:19], -v[14:15], v[16:17], 1.0
	v_fmac_f64_e32 v[16:17], v[16:17], v[18:19]
	s_delay_alu instid0(VALU_DEP_1) | instskip(NEXT) | instid1(VALU_DEP_1)
	v_mul_f64_e32 v[18:19], v[20:21], v[16:17]
	v_fma_f64 v[14:15], -v[14:15], v[18:19], v[20:21]
	s_delay_alu instid0(VALU_DEP_1) | instskip(NEXT) | instid1(VALU_DEP_1)
	v_div_fmas_f64 v[14:15], v[14:15], v[16:17], v[18:19]
	v_div_fixup_f64 v[4:5], v[14:15], v[2:3], v[4:5]
	s_delay_alu instid0(VALU_DEP_1) | instskip(NEXT) | instid1(VALU_DEP_1)
	v_div_scale_f64 v[14:15], null, v[2:3], v[2:3], v[4:5]
	v_rcp_f64_e32 v[16:17], v[14:15]
	v_nop
	s_delay_alu instid0(TRANS32_DEP_1) | instskip(NEXT) | instid1(VALU_DEP_1)
	v_fma_f64 v[18:19], -v[14:15], v[16:17], 1.0
	v_fmac_f64_e32 v[16:17], v[16:17], v[18:19]
	s_delay_alu instid0(VALU_DEP_1) | instskip(NEXT) | instid1(VALU_DEP_1)
	v_fma_f64 v[18:19], -v[14:15], v[16:17], 1.0
	v_fmac_f64_e32 v[16:17], v[16:17], v[18:19]
	v_div_scale_f64 v[18:19], vcc_lo, v[4:5], v[2:3], v[4:5]
	s_delay_alu instid0(VALU_DEP_1) | instskip(NEXT) | instid1(VALU_DEP_1)
	v_mul_f64_e32 v[20:21], v[18:19], v[16:17]
	v_fma_f64 v[14:15], -v[14:15], v[20:21], v[18:19]
	s_delay_alu instid0(VALU_DEP_1) | instskip(NEXT) | instid1(VALU_DEP_1)
	v_div_fmas_f64 v[14:15], v[14:15], v[16:17], v[20:21]
	v_div_fixup_f64 v[2:3], v[14:15], v[2:3], v[4:5]
	s_delay_alu instid0(VALU_DEP_1)
	v_cmp_gt_f64_e64 s25, s[44:45], v[2:3]
.LBB42_76:                              ;   in Loop: Header=BB42_11 Depth=1
	s_delay_alu instid0(VALU_DEP_1)
	s_and_b32 vcc_lo, exec_lo, s25
	s_cbranch_vccz .LBB42_78
; %bb.77:                               ;   in Loop: Header=BB42_11 Depth=1
	ds_store_b64 v7, v[8:9] offset:2056
.LBB42_78:                              ;   in Loop: Header=BB42_11 Depth=1
	ds_store_b8 v7, v26 offset:2068
.LBB42_79:                              ;   in Loop: Header=BB42_11 Depth=1
	s_wait_xcnt 0x0
	s_or_b32 exec_lo, exec_lo, s24
	s_wait_storecnt_dscnt 0x0
	s_barrier_signal -1
	s_barrier_wait -1
	ds_load_u8 v2, v7 offset:2068
	s_mov_b32 s7, -1
	s_wait_dscnt 0x0
	v_cmp_eq_u32_e32 vcc_lo, 0, v2
	s_cbranch_vccz .LBB42_83
; %bb.80:                               ;   in Loop: Header=BB42_11 Depth=1
	s_and_saveexec_b32 s7, s5
	s_cbranch_execz .LBB42_82
; %bb.81:                               ;   in Loop: Header=BB42_11 Depth=1
	global_store_b32 v7, v7, s[66:67]
.LBB42_82:                              ;   in Loop: Header=BB42_11 Depth=1
	s_wait_xcnt 0x0
	s_or_b32 exec_lo, exec_lo, s7
	s_mov_b32 s7, 0
.LBB42_83:                              ;   in Loop: Header=BB42_11 Depth=1
	s_delay_alu instid0(SALU_CYCLE_1)
	s_and_not1_b32 vcc_lo, exec_lo, s7
	s_cbranch_vccnz .LBB42_10
; %bb.84:                               ;   in Loop: Header=BB42_11 Depth=1
	ds_load_b32 v2, v7 offset:2064
	s_wait_dscnt 0x0
	v_readfirstlane_b32 s64, v2
	s_and_saveexec_b32 s7, s5
	s_cbranch_execz .LBB42_86
; %bb.85:                               ;   in Loop: Header=BB42_11 Depth=1
	s_cmp_eq_u32 s64, 0
	s_cselect_b32 s24, -1, 1
	s_delay_alu instid0(SALU_CYCLE_1)
	v_mov_b32_e32 v2, s24
	global_store_b32 v7, v2, s[66:67]
.LBB42_86:                              ;   in Loop: Header=BB42_11 Depth=1
	s_wait_xcnt 0x0
	s_or_b32 exec_lo, exec_lo, s7
	s_add_co_i32 s74, s56, 1
	s_mul_i32 s66, s60, s33
	s_sub_co_i32 s72, 1, s64
	s_ashr_i32 s67, s66, 31
	s_sub_co_i32 s7, s64, s72
	s_lshl_b32 s24, s74, 1
	s_and_b32 s25, s28, exec_lo
	s_cselect_b32 s68, s24, 0
	s_and_saveexec_b32 s57, s5
	s_cbranch_execz .LBB42_149
; %bb.87:                               ;   in Loop: Header=BB42_11 Depth=1
	s_cmp_lg_u32 s64, 0
	v_mov_b64_e32 v[16:17], 0
	s_cselect_b32 s59, -1, 0
	s_delay_alu instid0(SALU_CYCLE_1) | instskip(SKIP_1) | instid1(SALU_CYCLE_1)
	s_and_b32 s24, s59, exec_lo
	s_cselect_b32 s78, 0, s56
	v_mov_b32_e32 v2, s78
	global_load_b64 v[4:5], v2, s[76:77] scale_offset
	s_wait_xcnt 0x0
	v_mov_b64_e32 v[2:3], 0
	s_wait_loadcnt 0x0
	v_cmp_eq_f64_e32 vcc_lo, 0, v[4:5]
	s_cbranch_vccnz .LBB42_89
; %bb.88:                               ;   in Loop: Header=BB42_11 Depth=1
	ds_load_b64 v[2:3], v7 offset:2056
	s_wait_dscnt 0x0
	v_div_scale_f64 v[14:15], null, v[4:5], v[4:5], v[2:3]
	s_delay_alu instid0(VALU_DEP_1) | instskip(SKIP_1) | instid1(TRANS32_DEP_1)
	v_rcp_f64_e32 v[18:19], v[14:15]
	v_nop
	v_fma_f64 v[20:21], -v[14:15], v[18:19], 1.0
	s_delay_alu instid0(VALU_DEP_1) | instskip(NEXT) | instid1(VALU_DEP_1)
	v_fmac_f64_e32 v[18:19], v[18:19], v[20:21]
	v_fma_f64 v[20:21], -v[14:15], v[18:19], 1.0
	s_delay_alu instid0(VALU_DEP_1) | instskip(SKIP_1) | instid1(VALU_DEP_1)
	v_fmac_f64_e32 v[18:19], v[18:19], v[20:21]
	v_div_scale_f64 v[20:21], vcc_lo, v[2:3], v[4:5], v[2:3]
	v_mul_f64_e32 v[22:23], v[20:21], v[18:19]
	s_delay_alu instid0(VALU_DEP_1) | instskip(NEXT) | instid1(VALU_DEP_1)
	v_fma_f64 v[14:15], -v[14:15], v[22:23], v[20:21]
	v_div_fmas_f64 v[14:15], v[14:15], v[18:19], v[22:23]
	v_cmp_lt_f64_e32 vcc_lo, 0, v[4:5]
	s_delay_alu instid0(VALU_DEP_2) | instskip(SKIP_3) | instid1(VALU_DEP_3)
	v_div_fixup_f64 v[14:15], v[14:15], v[4:5], v[2:3]
	v_cndmask_b32_e64 v18, 0, 1, vcc_lo
	v_cmp_gt_f64_e32 vcc_lo, 0, v[4:5]
	v_add_f64_e64 v[2:3], |v[4:5]|, -v[2:3]
	v_subrev_co_ci_u32_e64 v18, null, 0, v18, vcc_lo
	s_delay_alu instid0(VALU_DEP_1) | instskip(NEXT) | instid1(VALU_DEP_1)
	v_cvt_f64_i32_e32 v[18:19], v18
	v_add_f64_e32 v[14:15], v[14:15], v[18:19]
	s_delay_alu instid0(VALU_DEP_1)
	v_mul_f64_e32 v[2:3], v[2:3], v[14:15]
.LBB42_89:                              ;   in Loop: Header=BB42_11 Depth=1
	s_ashr_i32 s79, s78, 31
	s_ashr_i32 s65, s64, 31
	s_delay_alu instid0(SALU_CYCLE_1) | instskip(NEXT) | instid1(SALU_CYCLE_1)
	s_add_nc_u64 s[80:81], s[78:79], s[64:65]
	s_lshl_b64 s[44:45], s[80:81], 3
	s_delay_alu instid0(SALU_CYCLE_1)
	s_add_nc_u64 s[82:83], s[70:71], s[44:45]
	global_load_b64 v[14:15], v7, s[82:83] offset:-8
	s_wait_loadcnt 0x0
	v_cmp_eq_f64_e32 vcc_lo, 0, v[14:15]
	s_cbranch_vccnz .LBB42_93
; %bb.90:                               ;   in Loop: Header=BB42_11 Depth=1
	v_cmp_eq_f64_e32 vcc_lo, 0, v[2:3]
	s_cbranch_vccnz .LBB42_94
; %bb.91:                               ;   in Loop: Header=BB42_11 Depth=1
	v_cmp_gt_f64_e64 s24, |v[14:15]|, |v[2:3]|
	s_and_b32 vcc_lo, exec_lo, s24
	s_cbranch_vccnz .LBB42_95
; %bb.92:                               ;   in Loop: Header=BB42_11 Depth=1
	v_div_scale_f64 v[16:17], null, v[2:3], v[2:3], -v[14:15]
	v_div_scale_f64 v[22:23], vcc_lo, -v[14:15], v[2:3], -v[14:15]
	s_delay_alu instid0(VALU_DEP_2) | instskip(SKIP_1) | instid1(TRANS32_DEP_1)
	v_rcp_f64_e32 v[18:19], v[16:17]
	v_nop
	v_fma_f64 v[20:21], -v[16:17], v[18:19], 1.0
	s_delay_alu instid0(VALU_DEP_1) | instskip(NEXT) | instid1(VALU_DEP_1)
	v_fmac_f64_e32 v[18:19], v[18:19], v[20:21]
	v_fma_f64 v[20:21], -v[16:17], v[18:19], 1.0
	s_delay_alu instid0(VALU_DEP_1) | instskip(NEXT) | instid1(VALU_DEP_1)
	v_fmac_f64_e32 v[18:19], v[18:19], v[20:21]
	v_mul_f64_e32 v[20:21], v[22:23], v[18:19]
	s_delay_alu instid0(VALU_DEP_1) | instskip(NEXT) | instid1(VALU_DEP_1)
	v_fma_f64 v[16:17], -v[16:17], v[20:21], v[22:23]
	v_div_fmas_f64 v[16:17], v[16:17], v[18:19], v[20:21]
	s_delay_alu instid0(VALU_DEP_1) | instskip(NEXT) | instid1(VALU_DEP_1)
	v_div_fixup_f64 v[16:17], v[16:17], v[2:3], -v[14:15]
	v_fma_f64 v[18:19], v[16:17], v[16:17], 1.0
	s_delay_alu instid0(VALU_DEP_1) | instskip(SKIP_2) | instid1(SALU_CYCLE_1)
	v_cmp_gt_f64_e32 vcc_lo, 0x10000000, v[18:19]
	s_and_b32 s24, vcc_lo, exec_lo
	s_cselect_b32 s24, 0x100, 0
	v_ldexp_f64 v[18:19], v[18:19], s24
	s_cselect_b32 s24, 0xffffff80, 0
	s_delay_alu instid0(VALU_DEP_1) | instskip(SKIP_1) | instid1(TRANS32_DEP_1)
	v_rsq_f64_e32 v[20:21], v[18:19]
	v_cmp_class_f64_e64 vcc_lo, v[18:19], 0x260
	v_mul_f64_e32 v[22:23], v[18:19], v[20:21]
	v_mul_f64_e32 v[20:21], 0.5, v[20:21]
	s_delay_alu instid0(VALU_DEP_1) | instskip(NEXT) | instid1(VALU_DEP_1)
	v_fma_f64 v[28:29], -v[20:21], v[22:23], 0.5
	v_fmac_f64_e32 v[22:23], v[22:23], v[28:29]
	v_fmac_f64_e32 v[20:21], v[20:21], v[28:29]
	s_delay_alu instid0(VALU_DEP_2) | instskip(NEXT) | instid1(VALU_DEP_1)
	v_fma_f64 v[28:29], -v[22:23], v[22:23], v[18:19]
	v_fmac_f64_e32 v[22:23], v[28:29], v[20:21]
	s_delay_alu instid0(VALU_DEP_1) | instskip(NEXT) | instid1(VALU_DEP_1)
	v_fma_f64 v[28:29], -v[22:23], v[22:23], v[18:19]
	v_fmac_f64_e32 v[22:23], v[28:29], v[20:21]
	s_delay_alu instid0(VALU_DEP_1) | instskip(NEXT) | instid1(VALU_DEP_1)
	v_ldexp_f64 v[20:21], v[22:23], s24
	v_dual_cndmask_b32 v19, v21, v19 :: v_dual_cndmask_b32 v18, v20, v18
	s_delay_alu instid0(VALU_DEP_1) | instskip(NEXT) | instid1(VALU_DEP_1)
	v_div_scale_f64 v[20:21], null, v[18:19], v[18:19], 1.0
	v_rcp_f64_e32 v[22:23], v[20:21]
	v_nop
	s_delay_alu instid0(TRANS32_DEP_1) | instskip(NEXT) | instid1(VALU_DEP_1)
	v_fma_f64 v[28:29], -v[20:21], v[22:23], 1.0
	v_fmac_f64_e32 v[22:23], v[22:23], v[28:29]
	s_delay_alu instid0(VALU_DEP_1) | instskip(NEXT) | instid1(VALU_DEP_1)
	v_fma_f64 v[28:29], -v[20:21], v[22:23], 1.0
	v_fmac_f64_e32 v[22:23], v[22:23], v[28:29]
	v_div_scale_f64 v[28:29], vcc_lo, 1.0, v[18:19], 1.0
	s_delay_alu instid0(VALU_DEP_1) | instskip(NEXT) | instid1(VALU_DEP_1)
	v_mul_f64_e32 v[30:31], v[28:29], v[22:23]
	v_fma_f64 v[20:21], -v[20:21], v[30:31], v[28:29]
	s_delay_alu instid0(VALU_DEP_1) | instskip(NEXT) | instid1(VALU_DEP_1)
	v_div_fmas_f64 v[20:21], v[20:21], v[22:23], v[30:31]
	v_div_fixup_f64 v[18:19], v[20:21], v[18:19], 1.0
	s_delay_alu instid0(VALU_DEP_1)
	v_mul_f64_e32 v[16:17], v[16:17], v[18:19]
	s_cbranch_execz .LBB42_96
	s_branch .LBB42_97
.LBB42_93:                              ;   in Loop: Header=BB42_11 Depth=1
	v_mov_b64_e32 v[18:19], 1.0
	s_branch .LBB42_97
.LBB42_94:                              ;   in Loop: Header=BB42_11 Depth=1
	v_mov_b64_e32 v[18:19], 0
	v_mov_b64_e32 v[16:17], 1.0
	s_branch .LBB42_97
.LBB42_95:                              ;   in Loop: Header=BB42_11 Depth=1
                                        ; implicit-def: $vgpr18_vgpr19
                                        ; implicit-def: $vgpr16_vgpr17
.LBB42_96:                              ;   in Loop: Header=BB42_11 Depth=1
	v_div_scale_f64 v[16:17], null, v[14:15], v[14:15], -v[2:3]
	v_div_scale_f64 v[22:23], vcc_lo, -v[2:3], v[14:15], -v[2:3]
	s_delay_alu instid0(VALU_DEP_2) | instskip(SKIP_1) | instid1(TRANS32_DEP_1)
	v_rcp_f64_e32 v[18:19], v[16:17]
	v_nop
	v_fma_f64 v[20:21], -v[16:17], v[18:19], 1.0
	s_delay_alu instid0(VALU_DEP_1) | instskip(NEXT) | instid1(VALU_DEP_1)
	v_fmac_f64_e32 v[18:19], v[18:19], v[20:21]
	v_fma_f64 v[20:21], -v[16:17], v[18:19], 1.0
	s_delay_alu instid0(VALU_DEP_1) | instskip(NEXT) | instid1(VALU_DEP_1)
	v_fmac_f64_e32 v[18:19], v[18:19], v[20:21]
	v_mul_f64_e32 v[20:21], v[22:23], v[18:19]
	s_delay_alu instid0(VALU_DEP_1) | instskip(NEXT) | instid1(VALU_DEP_1)
	v_fma_f64 v[16:17], -v[16:17], v[20:21], v[22:23]
	v_div_fmas_f64 v[16:17], v[16:17], v[18:19], v[20:21]
	s_delay_alu instid0(VALU_DEP_1) | instskip(NEXT) | instid1(VALU_DEP_1)
	v_div_fixup_f64 v[2:3], v[16:17], v[14:15], -v[2:3]
	v_fma_f64 v[16:17], v[2:3], v[2:3], 1.0
	s_delay_alu instid0(VALU_DEP_1) | instskip(SKIP_2) | instid1(SALU_CYCLE_1)
	v_cmp_gt_f64_e32 vcc_lo, 0x10000000, v[16:17]
	s_and_b32 s24, vcc_lo, exec_lo
	s_cselect_b32 s24, 0x100, 0
	v_ldexp_f64 v[16:17], v[16:17], s24
	s_cselect_b32 s24, 0xffffff80, 0
	s_delay_alu instid0(VALU_DEP_1) | instskip(SKIP_1) | instid1(TRANS32_DEP_1)
	v_rsq_f64_e32 v[18:19], v[16:17]
	v_cmp_class_f64_e64 vcc_lo, v[16:17], 0x260
	v_mul_f64_e32 v[20:21], v[16:17], v[18:19]
	v_mul_f64_e32 v[18:19], 0.5, v[18:19]
	s_delay_alu instid0(VALU_DEP_1) | instskip(NEXT) | instid1(VALU_DEP_1)
	v_fma_f64 v[22:23], -v[18:19], v[20:21], 0.5
	v_fmac_f64_e32 v[20:21], v[20:21], v[22:23]
	v_fmac_f64_e32 v[18:19], v[18:19], v[22:23]
	s_delay_alu instid0(VALU_DEP_2) | instskip(NEXT) | instid1(VALU_DEP_1)
	v_fma_f64 v[22:23], -v[20:21], v[20:21], v[16:17]
	v_fmac_f64_e32 v[20:21], v[22:23], v[18:19]
	s_delay_alu instid0(VALU_DEP_1) | instskip(NEXT) | instid1(VALU_DEP_1)
	v_fma_f64 v[22:23], -v[20:21], v[20:21], v[16:17]
	v_fmac_f64_e32 v[20:21], v[22:23], v[18:19]
	s_delay_alu instid0(VALU_DEP_1) | instskip(NEXT) | instid1(VALU_DEP_1)
	v_ldexp_f64 v[18:19], v[20:21], s24
	v_dual_cndmask_b32 v17, v19, v17 :: v_dual_cndmask_b32 v16, v18, v16
	s_delay_alu instid0(VALU_DEP_1) | instskip(NEXT) | instid1(VALU_DEP_1)
	v_div_scale_f64 v[18:19], null, v[16:17], v[16:17], 1.0
	v_rcp_f64_e32 v[20:21], v[18:19]
	v_nop
	s_delay_alu instid0(TRANS32_DEP_1) | instskip(NEXT) | instid1(VALU_DEP_1)
	v_fma_f64 v[22:23], -v[18:19], v[20:21], 1.0
	v_fmac_f64_e32 v[20:21], v[20:21], v[22:23]
	s_delay_alu instid0(VALU_DEP_1) | instskip(NEXT) | instid1(VALU_DEP_1)
	v_fma_f64 v[22:23], -v[18:19], v[20:21], 1.0
	v_fmac_f64_e32 v[20:21], v[20:21], v[22:23]
	v_div_scale_f64 v[22:23], vcc_lo, 1.0, v[16:17], 1.0
	s_delay_alu instid0(VALU_DEP_1) | instskip(NEXT) | instid1(VALU_DEP_1)
	v_mul_f64_e32 v[28:29], v[22:23], v[20:21]
	v_fma_f64 v[18:19], -v[18:19], v[28:29], v[22:23]
	s_delay_alu instid0(VALU_DEP_1) | instskip(NEXT) | instid1(VALU_DEP_1)
	v_div_fmas_f64 v[18:19], v[18:19], v[20:21], v[28:29]
	v_div_fixup_f64 v[16:17], v[18:19], v[16:17], 1.0
	s_delay_alu instid0(VALU_DEP_1)
	v_mul_f64_e32 v[18:19], v[2:3], v[16:17]
.LBB42_97:                              ;   in Loop: Header=BB42_11 Depth=1
	s_delay_alu instid0(VALU_DEP_1)
	v_mul_f64_e32 v[2:3], v[14:15], v[18:19]
	s_sub_nc_u64 s[24:25], 0, s[64:65]
	s_lshl_b64 s[48:49], s[78:79], 3
	s_sub_nc_u64 s[86:87], s[64:65], s[24:25]
	s_add_nc_u64 s[92:93], s[76:77], s[48:49]
	s_lshl_b64 s[24:25], s[86:87], 3
	s_lshl_b64 s[84:85], s[66:67], 3
	s_add_nc_u64 s[90:91], s[92:93], s[24:25]
	s_and_b32 s24, s28, s59
	s_add_nc_u64 s[76:77], s[18:19], s[84:85]
	v_cndmask_b32_e64 v20, 0, 1, s24
	s_and_not1_b32 vcc_lo, exec_lo, s24
	s_add_nc_u64 s[88:89], s[76:77], s[44:45]
	s_delay_alu instid0(VALU_DEP_2)
	v_fmac_f64_e32 v[2:3], v[4:5], v[16:17]
	s_clause 0x1
	global_store_b64 v7, v[2:3], s[82:83] offset:-8
	global_load_b64 v[2:3], v7, s[90:91] offset:-8
	s_wait_loadcnt 0x0
	v_mul_f64_e32 v[22:23], v[18:19], v[2:3]
	global_store_b64 v7, v[22:23], s[90:91] offset:-8
	s_cbranch_vccnz .LBB42_99
; %bb.98:                               ;   in Loop: Header=BB42_11 Depth=1
	v_mov_b32_e32 v21, s74
	s_clause 0x1
	global_store_b64 v7, v[18:19], s[88:89] offset:24
	global_store_b64 v21, v[16:17], s[88:89] offset:24 scale_offset
.LBB42_99:                              ;   in Loop: Header=BB42_11 Depth=1
	s_cmp_lg_u32 s64, 1
	s_cselect_b32 s24, -1, 0
	s_cmp_eq_u32 s64, 1
	s_cselect_b32 s25, -1, 0
	s_delay_alu instid0(SALU_CYCLE_1) | instskip(NEXT) | instid1(SALU_CYCLE_1)
	s_or_b32 s25, s104, s25
	s_and_b32 vcc_lo, exec_lo, s25
	s_cbranch_vccnz .LBB42_101
; %bb.100:                              ;   in Loop: Header=BB42_11 Depth=1
	s_ashr_i32 s69, s68, 31
	s_wait_xcnt 0x0
	v_mov_b32_e32 v21, s74
	s_add_nc_u64 s[44:45], s[80:81], s[68:69]
	s_delay_alu instid0(SALU_CYCLE_1) | instskip(NEXT) | instid1(SALU_CYCLE_1)
	s_lshl_b64 s[44:45], s[44:45], 3
	s_add_nc_u64 s[44:45], s[76:77], s[44:45]
	s_clause 0x1
	global_store_b64 v7, v[18:19], s[44:45] offset:24
	global_store_b64 v21, v[16:17], s[44:45] offset:24 scale_offset
.LBB42_101:                             ;   in Loop: Header=BB42_11 Depth=1
	v_mul_f64_e64 v[2:3], v[2:3], -v[16:17]
	v_mul_f64_e32 v[14:15], v[14:15], v[16:17]
	s_delay_alu instid0(VALU_DEP_2) | instskip(NEXT) | instid1(VALU_DEP_2)
	v_cmp_eq_f64_e32 vcc_lo, 0, v[2:3]
	v_fma_f64 v[4:5], v[4:5], v[18:19], -v[14:15]
	s_cbranch_vccnz .LBB42_105
; %bb.102:                              ;   in Loop: Header=BB42_11 Depth=1
	s_delay_alu instid0(VALU_DEP_1)
	v_cmp_eq_f64_e32 vcc_lo, 0, v[4:5]
	s_cbranch_vccnz .LBB42_106
; %bb.103:                              ;   in Loop: Header=BB42_11 Depth=1
	s_wait_xcnt 0x0
	v_cmp_gt_f64_e64 s44, |v[2:3]|, |v[4:5]|
	s_and_b32 vcc_lo, exec_lo, s44
	s_cbranch_vccnz .LBB42_107
; %bb.104:                              ;   in Loop: Header=BB42_11 Depth=1
	v_div_scale_f64 v[14:15], null, v[4:5], v[4:5], -v[2:3]
	v_div_scale_f64 v[22:23], vcc_lo, -v[2:3], v[4:5], -v[2:3]
	s_delay_alu instid0(VALU_DEP_2) | instskip(SKIP_1) | instid1(TRANS32_DEP_1)
	v_rcp_f64_e32 v[16:17], v[14:15]
	v_nop
	v_fma_f64 v[18:19], -v[14:15], v[16:17], 1.0
	s_delay_alu instid0(VALU_DEP_1) | instskip(NEXT) | instid1(VALU_DEP_1)
	v_fmac_f64_e32 v[16:17], v[16:17], v[18:19]
	v_fma_f64 v[18:19], -v[14:15], v[16:17], 1.0
	s_delay_alu instid0(VALU_DEP_1) | instskip(NEXT) | instid1(VALU_DEP_1)
	v_fmac_f64_e32 v[16:17], v[16:17], v[18:19]
	v_mul_f64_e32 v[18:19], v[22:23], v[16:17]
	s_delay_alu instid0(VALU_DEP_1) | instskip(NEXT) | instid1(VALU_DEP_1)
	v_fma_f64 v[14:15], -v[14:15], v[18:19], v[22:23]
	v_div_fmas_f64 v[14:15], v[14:15], v[16:17], v[18:19]
	s_delay_alu instid0(VALU_DEP_1) | instskip(NEXT) | instid1(VALU_DEP_1)
	v_div_fixup_f64 v[16:17], v[14:15], v[4:5], -v[2:3]
	v_fma_f64 v[14:15], v[16:17], v[16:17], 1.0
	s_delay_alu instid0(VALU_DEP_1) | instskip(SKIP_2) | instid1(SALU_CYCLE_1)
	v_cmp_gt_f64_e32 vcc_lo, 0x10000000, v[14:15]
	s_and_b32 s44, vcc_lo, exec_lo
	s_cselect_b32 s44, 0x100, 0
	v_ldexp_f64 v[14:15], v[14:15], s44
	s_cselect_b32 s44, 0xffffff80, 0
	s_delay_alu instid0(VALU_DEP_1) | instskip(SKIP_1) | instid1(TRANS32_DEP_1)
	v_rsq_f64_e32 v[18:19], v[14:15]
	v_cmp_class_f64_e64 vcc_lo, v[14:15], 0x260
	v_mul_f64_e32 v[22:23], v[14:15], v[18:19]
	v_mul_f64_e32 v[18:19], 0.5, v[18:19]
	s_delay_alu instid0(VALU_DEP_1) | instskip(NEXT) | instid1(VALU_DEP_1)
	v_fma_f64 v[28:29], -v[18:19], v[22:23], 0.5
	v_fmac_f64_e32 v[22:23], v[22:23], v[28:29]
	v_fmac_f64_e32 v[18:19], v[18:19], v[28:29]
	s_delay_alu instid0(VALU_DEP_2) | instskip(NEXT) | instid1(VALU_DEP_1)
	v_fma_f64 v[28:29], -v[22:23], v[22:23], v[14:15]
	v_fmac_f64_e32 v[22:23], v[28:29], v[18:19]
	s_delay_alu instid0(VALU_DEP_1) | instskip(NEXT) | instid1(VALU_DEP_1)
	v_fma_f64 v[28:29], -v[22:23], v[22:23], v[14:15]
	v_fmac_f64_e32 v[22:23], v[28:29], v[18:19]
	s_delay_alu instid0(VALU_DEP_1) | instskip(NEXT) | instid1(VALU_DEP_1)
	v_ldexp_f64 v[18:19], v[22:23], s44
	v_dual_cndmask_b32 v15, v19, v15 :: v_dual_cndmask_b32 v14, v18, v14
	s_delay_alu instid0(VALU_DEP_1) | instskip(NEXT) | instid1(VALU_DEP_1)
	v_div_scale_f64 v[18:19], null, v[14:15], v[14:15], 1.0
	v_rcp_f64_e32 v[22:23], v[18:19]
	v_nop
	s_delay_alu instid0(TRANS32_DEP_1) | instskip(NEXT) | instid1(VALU_DEP_1)
	v_fma_f64 v[28:29], -v[18:19], v[22:23], 1.0
	v_fmac_f64_e32 v[22:23], v[22:23], v[28:29]
	s_delay_alu instid0(VALU_DEP_1) | instskip(NEXT) | instid1(VALU_DEP_1)
	v_fma_f64 v[28:29], -v[18:19], v[22:23], 1.0
	v_fmac_f64_e32 v[22:23], v[22:23], v[28:29]
	v_div_scale_f64 v[28:29], vcc_lo, 1.0, v[14:15], 1.0
	s_delay_alu instid0(VALU_DEP_1) | instskip(NEXT) | instid1(VALU_DEP_1)
	v_mul_f64_e32 v[30:31], v[28:29], v[22:23]
	v_fma_f64 v[18:19], -v[18:19], v[30:31], v[28:29]
	s_delay_alu instid0(VALU_DEP_1) | instskip(NEXT) | instid1(VALU_DEP_1)
	v_div_fmas_f64 v[18:19], v[18:19], v[22:23], v[30:31]
	v_div_fixup_f64 v[14:15], v[18:19], v[14:15], 1.0
	s_delay_alu instid0(VALU_DEP_1)
	v_mul_f64_e32 v[16:17], v[16:17], v[14:15]
	s_cbranch_execz .LBB42_108
	s_branch .LBB42_109
.LBB42_105:                             ;   in Loop: Header=BB42_11 Depth=1
	v_mov_b64_e32 v[14:15], 1.0
	s_wait_xcnt 0x0
	v_mov_b64_e32 v[16:17], 0
	s_branch .LBB42_111
.LBB42_106:                             ;   in Loop: Header=BB42_11 Depth=1
	v_xor_b32_e32 v5, 0x80000000, v3
	v_mov_b32_e32 v4, v2
	s_wait_xcnt 0x0
                                        ; implicit-def: $vgpr14_vgpr15
                                        ; implicit-def: $vgpr16_vgpr17
	s_cbranch_execnz .LBB42_110
	s_branch .LBB42_111
.LBB42_107:                             ;   in Loop: Header=BB42_11 Depth=1
                                        ; implicit-def: $vgpr14_vgpr15
                                        ; implicit-def: $vgpr16_vgpr17
.LBB42_108:                             ;   in Loop: Header=BB42_11 Depth=1
	v_div_scale_f64 v[14:15], null, v[2:3], v[2:3], -v[4:5]
	v_div_scale_f64 v[22:23], vcc_lo, -v[4:5], v[2:3], -v[4:5]
	s_delay_alu instid0(VALU_DEP_2) | instskip(SKIP_1) | instid1(TRANS32_DEP_1)
	v_rcp_f64_e32 v[16:17], v[14:15]
	v_nop
	v_fma_f64 v[18:19], -v[14:15], v[16:17], 1.0
	s_delay_alu instid0(VALU_DEP_1) | instskip(NEXT) | instid1(VALU_DEP_1)
	v_fmac_f64_e32 v[16:17], v[16:17], v[18:19]
	v_fma_f64 v[18:19], -v[14:15], v[16:17], 1.0
	s_delay_alu instid0(VALU_DEP_1) | instskip(NEXT) | instid1(VALU_DEP_1)
	v_fmac_f64_e32 v[16:17], v[16:17], v[18:19]
	v_mul_f64_e32 v[18:19], v[22:23], v[16:17]
	s_delay_alu instid0(VALU_DEP_1) | instskip(NEXT) | instid1(VALU_DEP_1)
	v_fma_f64 v[14:15], -v[14:15], v[18:19], v[22:23]
	v_div_fmas_f64 v[14:15], v[14:15], v[16:17], v[18:19]
	s_delay_alu instid0(VALU_DEP_1) | instskip(NEXT) | instid1(VALU_DEP_1)
	v_div_fixup_f64 v[14:15], v[14:15], v[2:3], -v[4:5]
	v_fma_f64 v[16:17], v[14:15], v[14:15], 1.0
	s_delay_alu instid0(VALU_DEP_1) | instskip(SKIP_2) | instid1(SALU_CYCLE_1)
	v_cmp_gt_f64_e32 vcc_lo, 0x10000000, v[16:17]
	s_and_b32 s44, vcc_lo, exec_lo
	s_cselect_b32 s44, 0x100, 0
	v_ldexp_f64 v[16:17], v[16:17], s44
	s_cselect_b32 s44, 0xffffff80, 0
	s_delay_alu instid0(VALU_DEP_1) | instskip(SKIP_1) | instid1(TRANS32_DEP_1)
	v_rsq_f64_e32 v[18:19], v[16:17]
	v_cmp_class_f64_e64 vcc_lo, v[16:17], 0x260
	v_mul_f64_e32 v[22:23], v[16:17], v[18:19]
	v_mul_f64_e32 v[18:19], 0.5, v[18:19]
	s_delay_alu instid0(VALU_DEP_1) | instskip(NEXT) | instid1(VALU_DEP_1)
	v_fma_f64 v[28:29], -v[18:19], v[22:23], 0.5
	v_fmac_f64_e32 v[22:23], v[22:23], v[28:29]
	v_fmac_f64_e32 v[18:19], v[18:19], v[28:29]
	s_delay_alu instid0(VALU_DEP_2) | instskip(NEXT) | instid1(VALU_DEP_1)
	v_fma_f64 v[28:29], -v[22:23], v[22:23], v[16:17]
	v_fmac_f64_e32 v[22:23], v[28:29], v[18:19]
	s_delay_alu instid0(VALU_DEP_1) | instskip(NEXT) | instid1(VALU_DEP_1)
	v_fma_f64 v[28:29], -v[22:23], v[22:23], v[16:17]
	v_fmac_f64_e32 v[22:23], v[28:29], v[18:19]
	s_delay_alu instid0(VALU_DEP_1) | instskip(NEXT) | instid1(VALU_DEP_1)
	v_ldexp_f64 v[18:19], v[22:23], s44
	v_dual_cndmask_b32 v17, v19, v17 :: v_dual_cndmask_b32 v16, v18, v16
	s_delay_alu instid0(VALU_DEP_1) | instskip(NEXT) | instid1(VALU_DEP_1)
	v_div_scale_f64 v[18:19], null, v[16:17], v[16:17], 1.0
	v_rcp_f64_e32 v[22:23], v[18:19]
	v_nop
	s_delay_alu instid0(TRANS32_DEP_1) | instskip(NEXT) | instid1(VALU_DEP_1)
	v_fma_f64 v[28:29], -v[18:19], v[22:23], 1.0
	v_fmac_f64_e32 v[22:23], v[22:23], v[28:29]
	s_delay_alu instid0(VALU_DEP_1) | instskip(NEXT) | instid1(VALU_DEP_1)
	v_fma_f64 v[28:29], -v[18:19], v[22:23], 1.0
	v_fmac_f64_e32 v[22:23], v[22:23], v[28:29]
	v_div_scale_f64 v[28:29], vcc_lo, 1.0, v[16:17], 1.0
	s_delay_alu instid0(VALU_DEP_1) | instskip(NEXT) | instid1(VALU_DEP_1)
	v_mul_f64_e32 v[30:31], v[28:29], v[22:23]
	v_fma_f64 v[18:19], -v[18:19], v[30:31], v[28:29]
	s_delay_alu instid0(VALU_DEP_1) | instskip(NEXT) | instid1(VALU_DEP_1)
	v_div_fmas_f64 v[18:19], v[18:19], v[22:23], v[30:31]
	v_div_fixup_f64 v[16:17], v[18:19], v[16:17], 1.0
	s_delay_alu instid0(VALU_DEP_1)
	v_mul_f64_e32 v[14:15], v[14:15], v[16:17]
.LBB42_109:                             ;   in Loop: Header=BB42_11 Depth=1
	s_delay_alu instid0(VALU_DEP_1) | instskip(NEXT) | instid1(VALU_DEP_1)
	v_mul_f64_e32 v[18:19], v[2:3], v[16:17]
	v_fma_f64 v[4:5], v[4:5], v[14:15], -v[18:19]
	s_branch .LBB42_111
.LBB42_110:                             ;   in Loop: Header=BB42_11 Depth=1
	v_mov_b64_e32 v[14:15], 0
	v_mov_b64_e32 v[16:17], 1.0
.LBB42_111:                             ;   in Loop: Header=BB42_11 Depth=1
	s_clause 0x2
	global_store_b64 v7, v[4:5], s[92:93]
	global_load_b64 v[18:19], v7, s[90:91] offset:-8
	global_load_b64 v[4:5], v7, s[82:83] offset:-8
	s_cmp_eq_u32 s74, 2
	s_wait_loadcnt 0x1
	v_mul_f64_e32 v[22:23], v[14:15], v[18:19]
	s_wait_loadcnt 0x0
	s_delay_alu instid0(VALU_DEP_1)
	v_fmac_f64_e32 v[22:23], v[16:17], v[4:5]
	global_store_b64 v7, v[22:23], s[90:91] offset:-8
	s_cbranch_scc0 .LBB42_169
; %bb.112:                              ;   in Loop: Header=BB42_11 Depth=1
	s_and_b32 s24, s28, s24
	s_delay_alu instid0(SALU_CYCLE_1)
	v_cndmask_b32_e64 v21, 0, 1, s24
	s_and_not1_b32 vcc_lo, exec_lo, s24
	s_cbranch_vccz .LBB42_170
.LBB42_113:                             ;   in Loop: Header=BB42_11 Depth=1
	s_xor_b32 s24, s59, -1
	s_delay_alu instid0(SALU_CYCLE_1) | instskip(NEXT) | instid1(SALU_CYCLE_1)
	s_or_b32 s44, s104, s24
	s_and_b32 vcc_lo, exec_lo, s44
	s_cbranch_vccnz .LBB42_115
.LBB42_114:                             ;   in Loop: Header=BB42_11 Depth=1
	s_ashr_i32 s69, s68, 31
	s_wait_xcnt 0x0
	v_mov_b32_e32 v22, s74
	s_add_nc_u64 s[48:49], s[80:81], s[68:69]
	s_delay_alu instid0(SALU_CYCLE_1) | instskip(NEXT) | instid1(SALU_CYCLE_1)
	s_lshl_b64 s[48:49], s[48:49], 3
	s_add_nc_u64 s[48:49], s[76:77], s[48:49]
	s_clause 0x1
	global_store_b64 v7, v[14:15], s[48:49] offset:24
	global_store_b64 v22, v[16:17], s[48:49] offset:24 scale_offset
.LBB42_115:                             ;   in Loop: Header=BB42_11 Depth=1
	s_wait_xcnt 0x0
	v_mul_f64_e32 v[16:17], v[16:17], v[18:19]
	s_cmp_eq_u32 s56, 1
	s_mov_b32 s24, 0
	s_delay_alu instid0(VALU_DEP_1)
	v_fma_f64 v[4:5], v[14:15], v[4:5], -v[16:17]
	s_cbranch_scc1 .LBB42_148
; %bb.116:                              ;   in Loop: Header=BB42_11 Depth=1
	s_xor_b32 s52, s44, -1
	s_add_co_i32 s44, s78, s7
	s_sub_co_i32 s48, s78, s72
	s_lshl_b64 s[82:83], s[64:65], 4
	s_ashr_i32 s45, s44, 31
	v_readlane_b32 s78, v40, 2
	v_readlane_b32 s79, v40, 3
	s_add_nc_u64 s[88:89], s[82:83], s[62:63]
	s_lshl_b64 s[44:45], s[44:45], 3
	s_ashr_i32 s69, s68, 31
	s_add_nc_u64 s[76:77], s[88:89], s[44:45]
	s_lshl_b32 s49, s64, 1
	s_add_nc_u64 s[76:77], s[78:79], s[76:77]
	s_add_co_i32 s78, s49, -2
	s_add_nc_u64 s[80:81], s[86:87], s[68:69]
	s_ashr_i32 s49, s48, 31
	s_ashr_i32 s75, s74, 31
	s_add_nc_u64 s[80:81], s[80:81], s[48:49]
	s_add_nc_u64 s[44:45], s[62:63], s[44:45]
	s_lshl_b64 s[80:81], s[80:81], 3
	s_lshl_b64 s[90:91], s[74:75], 3
	s_add_nc_u64 s[86:87], s[80:81], s[84:85]
	s_add_nc_u64 s[74:75], s[20:21], s[44:45]
	;; [unrolled: 1-line block ×4, first 2 shown]
	s_lshl_b64 s[92:93], s[48:49], 3
	s_add_nc_u64 s[48:49], s[84:85], s[48:49]
	s_mul_u64 s[84:85], s[64:65], 24
	s_lshl_b64 s[48:49], s[48:49], 3
	s_ashr_i32 s73, s72, 31
	s_add_nc_u64 s[44:45], s[44:45], s[92:93]
	s_add_nc_u64 s[48:49], s[84:85], s[48:49]
	s_lshl_b64 s[84:85], s[72:73], 3
	s_add_nc_u64 s[80:81], s[86:87], s[90:91]
	s_add_nc_u64 s[82:83], s[46:47], s[86:87]
	;; [unrolled: 1-line block ×3, first 2 shown]
	s_sub_nc_u64 s[48:49], s[48:49], s[84:85]
	s_add_nc_u64 s[84:85], s[46:47], s[44:45]
	v_readlane_b32 s44, v40, 4
	v_readlane_b32 s45, v40, 5
	s_add_nc_u64 s[72:73], s[46:47], s[86:87]
	s_ashr_i32 s79, s78, 31
	s_xor_b32 s25, s25, -1
	s_lshl_b64 s[78:79], s[78:79], 3
	s_add_nc_u64 s[86:87], s[44:45], s[48:49]
	s_add_nc_u64 s[44:45], s[88:89], s[92:93]
	v_readlane_b32 s88, v40, 6
	v_readlane_b32 s89, v40, 7
	s_add_nc_u64 s[48:49], s[62:63], s[92:93]
	s_add_co_i32 s24, s56, -1
	s_mov_b32 s53, 1
	s_or_b64 s[78:79], s[78:79], 8
	s_add_nc_u64 s[80:81], s[46:47], s[80:81]
	s_add_nc_u64 s[88:89], s[88:89], s[44:45]
	s_add_nc_u64 s[90:91], s[26:27], s[48:49]
	s_mov_b64 s[92:93], 0
	s_branch .LBB42_118
.LBB42_117:                             ;   in Loop: Header=BB42_118 Depth=2
	s_wait_xcnt 0x0
	v_mul_f64_e32 v[16:17], v[16:17], v[18:19]
	s_add_co_i32 s53, s53, 1
	s_add_nc_u64 s[92:93], s[92:93], s[78:79]
	s_cmp_eq_u32 s56, s53
	s_delay_alu instid0(VALU_DEP_1)
	v_fma_f64 v[4:5], v[14:15], v[4:5], -v[16:17]
	s_cbranch_scc1 .LBB42_148
.LBB42_118:                             ;   Parent Loop BB42_11 Depth=1
                                        ; =>  This Inner Loop Header: Depth=2
	v_cmp_eq_f64_e32 vcc_lo, 0, v[2:3]
	s_cbranch_vccnz .LBB42_122
; %bb.119:                              ;   in Loop: Header=BB42_118 Depth=2
	s_delay_alu instid0(VALU_DEP_2)
	v_cmp_neq_f64_e32 vcc_lo, 0, v[4:5]
	s_cbranch_vccz .LBB42_123
; %bb.120:                              ;   in Loop: Header=BB42_118 Depth=2
	v_cmp_ngt_f64_e64 s44, |v[2:3]|, |v[4:5]|
	s_and_b32 vcc_lo, exec_lo, s44
	s_cbranch_vccz .LBB42_124
; %bb.121:                              ;   in Loop: Header=BB42_118 Depth=2
	v_div_scale_f64 v[14:15], null, v[4:5], v[4:5], -v[2:3]
	v_div_scale_f64 v[22:23], vcc_lo, -v[2:3], v[4:5], -v[2:3]
	s_delay_alu instid0(VALU_DEP_2) | instskip(SKIP_1) | instid1(TRANS32_DEP_1)
	v_rcp_f64_e32 v[16:17], v[14:15]
	v_nop
	v_fma_f64 v[18:19], -v[14:15], v[16:17], 1.0
	s_delay_alu instid0(VALU_DEP_1) | instskip(NEXT) | instid1(VALU_DEP_1)
	v_fmac_f64_e32 v[16:17], v[16:17], v[18:19]
	v_fma_f64 v[18:19], -v[14:15], v[16:17], 1.0
	s_delay_alu instid0(VALU_DEP_1) | instskip(NEXT) | instid1(VALU_DEP_1)
	v_fmac_f64_e32 v[16:17], v[16:17], v[18:19]
	v_mul_f64_e32 v[18:19], v[22:23], v[16:17]
	s_delay_alu instid0(VALU_DEP_1) | instskip(NEXT) | instid1(VALU_DEP_1)
	v_fma_f64 v[14:15], -v[14:15], v[18:19], v[22:23]
	v_div_fmas_f64 v[14:15], v[14:15], v[16:17], v[18:19]
	s_delay_alu instid0(VALU_DEP_1) | instskip(NEXT) | instid1(VALU_DEP_1)
	v_div_fixup_f64 v[16:17], v[14:15], v[4:5], -v[2:3]
	v_fma_f64 v[14:15], v[16:17], v[16:17], 1.0
	s_delay_alu instid0(VALU_DEP_1) | instskip(SKIP_2) | instid1(SALU_CYCLE_1)
	v_cmp_gt_f64_e32 vcc_lo, 0x10000000, v[14:15]
	s_and_b32 s44, vcc_lo, exec_lo
	s_cselect_b32 s44, 0x100, 0
	v_ldexp_f64 v[14:15], v[14:15], s44
	s_cselect_b32 s44, 0xffffff80, 0
	s_delay_alu instid0(VALU_DEP_1) | instskip(SKIP_1) | instid1(TRANS32_DEP_1)
	v_rsq_f64_e32 v[18:19], v[14:15]
	v_cmp_class_f64_e64 vcc_lo, v[14:15], 0x260
	v_mul_f64_e32 v[22:23], v[14:15], v[18:19]
	v_mul_f64_e32 v[18:19], 0.5, v[18:19]
	s_delay_alu instid0(VALU_DEP_1) | instskip(NEXT) | instid1(VALU_DEP_1)
	v_fma_f64 v[28:29], -v[18:19], v[22:23], 0.5
	v_fmac_f64_e32 v[22:23], v[22:23], v[28:29]
	v_fmac_f64_e32 v[18:19], v[18:19], v[28:29]
	s_delay_alu instid0(VALU_DEP_2) | instskip(NEXT) | instid1(VALU_DEP_1)
	v_fma_f64 v[28:29], -v[22:23], v[22:23], v[14:15]
	v_fmac_f64_e32 v[22:23], v[28:29], v[18:19]
	s_delay_alu instid0(VALU_DEP_1) | instskip(NEXT) | instid1(VALU_DEP_1)
	v_fma_f64 v[28:29], -v[22:23], v[22:23], v[14:15]
	v_fmac_f64_e32 v[22:23], v[28:29], v[18:19]
	s_delay_alu instid0(VALU_DEP_1) | instskip(NEXT) | instid1(VALU_DEP_1)
	v_ldexp_f64 v[18:19], v[22:23], s44
	v_dual_cndmask_b32 v15, v19, v15 :: v_dual_cndmask_b32 v14, v18, v14
	s_delay_alu instid0(VALU_DEP_1) | instskip(NEXT) | instid1(VALU_DEP_1)
	v_div_scale_f64 v[18:19], null, v[14:15], v[14:15], 1.0
	v_rcp_f64_e32 v[22:23], v[18:19]
	v_nop
	s_delay_alu instid0(TRANS32_DEP_1) | instskip(NEXT) | instid1(VALU_DEP_1)
	v_fma_f64 v[28:29], -v[18:19], v[22:23], 1.0
	v_fmac_f64_e32 v[22:23], v[22:23], v[28:29]
	s_delay_alu instid0(VALU_DEP_1) | instskip(NEXT) | instid1(VALU_DEP_1)
	v_fma_f64 v[28:29], -v[18:19], v[22:23], 1.0
	v_fmac_f64_e32 v[22:23], v[22:23], v[28:29]
	v_div_scale_f64 v[28:29], vcc_lo, 1.0, v[14:15], 1.0
	s_delay_alu instid0(VALU_DEP_1) | instskip(NEXT) | instid1(VALU_DEP_1)
	v_mul_f64_e32 v[30:31], v[28:29], v[22:23]
	v_fma_f64 v[18:19], -v[18:19], v[30:31], v[28:29]
	s_delay_alu instid0(VALU_DEP_1) | instskip(NEXT) | instid1(VALU_DEP_1)
	v_div_fmas_f64 v[18:19], v[18:19], v[22:23], v[30:31]
	v_div_fixup_f64 v[14:15], v[18:19], v[14:15], 1.0
	s_delay_alu instid0(VALU_DEP_1)
	v_mul_f64_e32 v[16:17], v[16:17], v[14:15]
	s_cbranch_execz .LBB42_125
	s_branch .LBB42_126
.LBB42_122:                             ;   in Loop: Header=BB42_118 Depth=2
	v_mov_b64_e32 v[14:15], 1.0
	v_mov_b64_e32 v[16:17], 0
	s_branch .LBB42_128
.LBB42_123:                             ;   in Loop: Header=BB42_118 Depth=2
	v_xor_b32_e32 v3, 0x80000000, v3
                                        ; implicit-def: $vgpr14_vgpr15
                                        ; implicit-def: $vgpr16_vgpr17
	s_delay_alu instid0(VALU_DEP_1)
	v_mov_b64_e32 v[4:5], v[2:3]
	s_cbranch_execnz .LBB42_127
	s_branch .LBB42_128
.LBB42_124:                             ;   in Loop: Header=BB42_118 Depth=2
                                        ; implicit-def: $vgpr14_vgpr15
                                        ; implicit-def: $vgpr16_vgpr17
.LBB42_125:                             ;   in Loop: Header=BB42_118 Depth=2
	v_div_scale_f64 v[14:15], null, v[2:3], v[2:3], -v[4:5]
	v_div_scale_f64 v[22:23], vcc_lo, -v[4:5], v[2:3], -v[4:5]
	s_delay_alu instid0(VALU_DEP_2) | instskip(SKIP_1) | instid1(TRANS32_DEP_1)
	v_rcp_f64_e32 v[16:17], v[14:15]
	v_nop
	v_fma_f64 v[18:19], -v[14:15], v[16:17], 1.0
	s_delay_alu instid0(VALU_DEP_1) | instskip(NEXT) | instid1(VALU_DEP_1)
	v_fmac_f64_e32 v[16:17], v[16:17], v[18:19]
	v_fma_f64 v[18:19], -v[14:15], v[16:17], 1.0
	s_delay_alu instid0(VALU_DEP_1) | instskip(NEXT) | instid1(VALU_DEP_1)
	v_fmac_f64_e32 v[16:17], v[16:17], v[18:19]
	v_mul_f64_e32 v[18:19], v[22:23], v[16:17]
	s_delay_alu instid0(VALU_DEP_1) | instskip(NEXT) | instid1(VALU_DEP_1)
	v_fma_f64 v[14:15], -v[14:15], v[18:19], v[22:23]
	v_div_fmas_f64 v[14:15], v[14:15], v[16:17], v[18:19]
	s_delay_alu instid0(VALU_DEP_1) | instskip(NEXT) | instid1(VALU_DEP_1)
	v_div_fixup_f64 v[14:15], v[14:15], v[2:3], -v[4:5]
	v_fma_f64 v[16:17], v[14:15], v[14:15], 1.0
	s_delay_alu instid0(VALU_DEP_1) | instskip(SKIP_2) | instid1(SALU_CYCLE_1)
	v_cmp_gt_f64_e32 vcc_lo, 0x10000000, v[16:17]
	s_and_b32 s44, vcc_lo, exec_lo
	s_cselect_b32 s44, 0x100, 0
	v_ldexp_f64 v[16:17], v[16:17], s44
	s_cselect_b32 s44, 0xffffff80, 0
	s_delay_alu instid0(VALU_DEP_1) | instskip(SKIP_1) | instid1(TRANS32_DEP_1)
	v_rsq_f64_e32 v[18:19], v[16:17]
	v_cmp_class_f64_e64 vcc_lo, v[16:17], 0x260
	v_mul_f64_e32 v[22:23], v[16:17], v[18:19]
	v_mul_f64_e32 v[18:19], 0.5, v[18:19]
	s_delay_alu instid0(VALU_DEP_1) | instskip(NEXT) | instid1(VALU_DEP_1)
	v_fma_f64 v[28:29], -v[18:19], v[22:23], 0.5
	v_fmac_f64_e32 v[22:23], v[22:23], v[28:29]
	v_fmac_f64_e32 v[18:19], v[18:19], v[28:29]
	s_delay_alu instid0(VALU_DEP_2) | instskip(NEXT) | instid1(VALU_DEP_1)
	v_fma_f64 v[28:29], -v[22:23], v[22:23], v[16:17]
	v_fmac_f64_e32 v[22:23], v[28:29], v[18:19]
	s_delay_alu instid0(VALU_DEP_1) | instskip(NEXT) | instid1(VALU_DEP_1)
	v_fma_f64 v[28:29], -v[22:23], v[22:23], v[16:17]
	v_fmac_f64_e32 v[22:23], v[28:29], v[18:19]
	s_delay_alu instid0(VALU_DEP_1) | instskip(NEXT) | instid1(VALU_DEP_1)
	v_ldexp_f64 v[18:19], v[22:23], s44
	v_dual_cndmask_b32 v17, v19, v17 :: v_dual_cndmask_b32 v16, v18, v16
	s_delay_alu instid0(VALU_DEP_1) | instskip(NEXT) | instid1(VALU_DEP_1)
	v_div_scale_f64 v[18:19], null, v[16:17], v[16:17], 1.0
	v_rcp_f64_e32 v[22:23], v[18:19]
	v_nop
	s_delay_alu instid0(TRANS32_DEP_1) | instskip(NEXT) | instid1(VALU_DEP_1)
	v_fma_f64 v[28:29], -v[18:19], v[22:23], 1.0
	v_fmac_f64_e32 v[22:23], v[22:23], v[28:29]
	s_delay_alu instid0(VALU_DEP_1) | instskip(NEXT) | instid1(VALU_DEP_1)
	v_fma_f64 v[28:29], -v[18:19], v[22:23], 1.0
	v_fmac_f64_e32 v[22:23], v[22:23], v[28:29]
	v_div_scale_f64 v[28:29], vcc_lo, 1.0, v[16:17], 1.0
	s_delay_alu instid0(VALU_DEP_1) | instskip(NEXT) | instid1(VALU_DEP_1)
	v_mul_f64_e32 v[30:31], v[28:29], v[22:23]
	v_fma_f64 v[18:19], -v[18:19], v[30:31], v[28:29]
	s_delay_alu instid0(VALU_DEP_1) | instskip(NEXT) | instid1(VALU_DEP_1)
	v_div_fmas_f64 v[18:19], v[18:19], v[22:23], v[30:31]
	v_div_fixup_f64 v[16:17], v[18:19], v[16:17], 1.0
	s_delay_alu instid0(VALU_DEP_1)
	v_mul_f64_e32 v[14:15], v[14:15], v[16:17]
.LBB42_126:                             ;   in Loop: Header=BB42_118 Depth=2
	s_delay_alu instid0(VALU_DEP_1) | instskip(NEXT) | instid1(VALU_DEP_1)
	v_mul_f64_e32 v[2:3], v[2:3], v[16:17]
	v_fma_f64 v[4:5], v[4:5], v[14:15], -v[2:3]
	s_branch .LBB42_128
.LBB42_127:                             ;   in Loop: Header=BB42_118 Depth=2
	v_mov_b64_e32 v[14:15], 0
	v_mov_b64_e32 v[16:17], 1.0
.LBB42_128:                             ;   in Loop: Header=BB42_118 Depth=2
	s_add_nc_u64 s[44:45], s[90:91], s[92:93]
	s_add_nc_u64 s[102:103], s[88:89], s[92:93]
	s_clause 0x1
	global_store_b64 v7, v[4:5], s[44:45]
	global_load_b64 v[18:19], v7, s[102:103]
	s_add_nc_u64 s[48:49], s[74:75], s[92:93]
	s_wait_xcnt 0x1
	s_add_nc_u64 s[44:45], s[76:77], s[92:93]
	global_load_b64 v[4:5], v7, s[48:49]
	v_cmp_ne_u32_e32 vcc_lo, 1, v20
	s_add_nc_u64 s[94:95], s[84:85], s[92:93]
	s_add_nc_u64 s[96:97], s[72:73], s[92:93]
	s_and_b32 vcc_lo, exec_lo, vcc_lo
	s_wait_loadcnt 0x1
	v_mul_f64_e32 v[2:3], v[14:15], v[18:19]
	s_wait_loadcnt 0x0
	s_delay_alu instid0(VALU_DEP_1)
	v_fmac_f64_e32 v[2:3], v[16:17], v[4:5]
	s_clause 0x1
	global_store_b64 v7, v[2:3], s[102:103]
	global_load_b64 v[2:3], v7, s[44:45]
	s_wait_loadcnt 0x0
	v_mul_f64_e32 v[22:23], v[14:15], v[2:3]
	global_store_b64 v7, v[22:23], s[44:45]
	s_cbranch_vccnz .LBB42_130
; %bb.129:                              ;   in Loop: Header=BB42_118 Depth=2
	s_clause 0x1
	global_store_b64 v7, v[14:15], s[94:95]
	global_store_b64 v7, v[16:17], s[96:97]
.LBB42_130:                             ;   in Loop: Header=BB42_118 Depth=2
	s_and_not1_b32 vcc_lo, exec_lo, s25
	s_add_nc_u64 s[98:99], s[82:83], s[92:93]
	s_add_nc_u64 s[100:101], s[80:81], s[92:93]
	s_cbranch_vccnz .LBB42_132
; %bb.131:                              ;   in Loop: Header=BB42_118 Depth=2
	s_clause 0x1
	global_store_b64 v7, v[14:15], s[98:99]
	global_store_b64 v7, v[16:17], s[100:101]
.LBB42_132:                             ;   in Loop: Header=BB42_118 Depth=2
	v_mul_f64_e64 v[2:3], v[2:3], -v[16:17]
	s_wait_xcnt 0x0
	v_mul_f64_e32 v[16:17], v[16:17], v[18:19]
	s_delay_alu instid0(VALU_DEP_2) | instskip(NEXT) | instid1(VALU_DEP_2)
	v_cmp_eq_f64_e32 vcc_lo, 0, v[2:3]
	v_fma_f64 v[4:5], v[14:15], v[4:5], -v[16:17]
	s_cbranch_vccnz .LBB42_136
; %bb.133:                              ;   in Loop: Header=BB42_118 Depth=2
	s_delay_alu instid0(VALU_DEP_1)
	v_cmp_neq_f64_e32 vcc_lo, 0, v[4:5]
	s_cbranch_vccz .LBB42_137
; %bb.134:                              ;   in Loop: Header=BB42_118 Depth=2
	v_cmp_ngt_f64_e64 s65, |v[2:3]|, |v[4:5]|
	s_and_b32 vcc_lo, exec_lo, s65
	s_cbranch_vccz .LBB42_138
; %bb.135:                              ;   in Loop: Header=BB42_118 Depth=2
	v_div_scale_f64 v[14:15], null, v[4:5], v[4:5], -v[2:3]
	v_div_scale_f64 v[22:23], vcc_lo, -v[2:3], v[4:5], -v[2:3]
	s_delay_alu instid0(VALU_DEP_2) | instskip(SKIP_1) | instid1(TRANS32_DEP_1)
	v_rcp_f64_e32 v[16:17], v[14:15]
	v_nop
	v_fma_f64 v[18:19], -v[14:15], v[16:17], 1.0
	s_delay_alu instid0(VALU_DEP_1) | instskip(NEXT) | instid1(VALU_DEP_1)
	v_fmac_f64_e32 v[16:17], v[16:17], v[18:19]
	v_fma_f64 v[18:19], -v[14:15], v[16:17], 1.0
	s_delay_alu instid0(VALU_DEP_1) | instskip(NEXT) | instid1(VALU_DEP_1)
	v_fmac_f64_e32 v[16:17], v[16:17], v[18:19]
	v_mul_f64_e32 v[18:19], v[22:23], v[16:17]
	s_delay_alu instid0(VALU_DEP_1) | instskip(NEXT) | instid1(VALU_DEP_1)
	v_fma_f64 v[14:15], -v[14:15], v[18:19], v[22:23]
	v_div_fmas_f64 v[14:15], v[14:15], v[16:17], v[18:19]
	s_delay_alu instid0(VALU_DEP_1) | instskip(NEXT) | instid1(VALU_DEP_1)
	v_div_fixup_f64 v[16:17], v[14:15], v[4:5], -v[2:3]
	v_fma_f64 v[14:15], v[16:17], v[16:17], 1.0
	s_delay_alu instid0(VALU_DEP_1) | instskip(SKIP_2) | instid1(SALU_CYCLE_1)
	v_cmp_gt_f64_e32 vcc_lo, 0x10000000, v[14:15]
	s_and_b32 s65, vcc_lo, exec_lo
	s_cselect_b32 s65, 0x100, 0
	v_ldexp_f64 v[14:15], v[14:15], s65
	s_cselect_b32 s65, 0xffffff80, 0
	s_delay_alu instid0(VALU_DEP_1) | instskip(SKIP_1) | instid1(TRANS32_DEP_1)
	v_rsq_f64_e32 v[18:19], v[14:15]
	v_cmp_class_f64_e64 vcc_lo, v[14:15], 0x260
	v_mul_f64_e32 v[22:23], v[14:15], v[18:19]
	v_mul_f64_e32 v[18:19], 0.5, v[18:19]
	s_delay_alu instid0(VALU_DEP_1) | instskip(NEXT) | instid1(VALU_DEP_1)
	v_fma_f64 v[28:29], -v[18:19], v[22:23], 0.5
	v_fmac_f64_e32 v[22:23], v[22:23], v[28:29]
	v_fmac_f64_e32 v[18:19], v[18:19], v[28:29]
	s_delay_alu instid0(VALU_DEP_2) | instskip(NEXT) | instid1(VALU_DEP_1)
	v_fma_f64 v[28:29], -v[22:23], v[22:23], v[14:15]
	v_fmac_f64_e32 v[22:23], v[28:29], v[18:19]
	s_delay_alu instid0(VALU_DEP_1) | instskip(NEXT) | instid1(VALU_DEP_1)
	v_fma_f64 v[28:29], -v[22:23], v[22:23], v[14:15]
	v_fmac_f64_e32 v[22:23], v[28:29], v[18:19]
	s_delay_alu instid0(VALU_DEP_1) | instskip(NEXT) | instid1(VALU_DEP_1)
	v_ldexp_f64 v[18:19], v[22:23], s65
	v_dual_cndmask_b32 v15, v19, v15 :: v_dual_cndmask_b32 v14, v18, v14
	s_delay_alu instid0(VALU_DEP_1) | instskip(NEXT) | instid1(VALU_DEP_1)
	v_div_scale_f64 v[18:19], null, v[14:15], v[14:15], 1.0
	v_rcp_f64_e32 v[22:23], v[18:19]
	v_nop
	s_delay_alu instid0(TRANS32_DEP_1) | instskip(NEXT) | instid1(VALU_DEP_1)
	v_fma_f64 v[28:29], -v[18:19], v[22:23], 1.0
	v_fmac_f64_e32 v[22:23], v[22:23], v[28:29]
	s_delay_alu instid0(VALU_DEP_1) | instskip(NEXT) | instid1(VALU_DEP_1)
	v_fma_f64 v[28:29], -v[18:19], v[22:23], 1.0
	v_fmac_f64_e32 v[22:23], v[22:23], v[28:29]
	v_div_scale_f64 v[28:29], vcc_lo, 1.0, v[14:15], 1.0
	s_delay_alu instid0(VALU_DEP_1) | instskip(NEXT) | instid1(VALU_DEP_1)
	v_mul_f64_e32 v[30:31], v[28:29], v[22:23]
	v_fma_f64 v[18:19], -v[18:19], v[30:31], v[28:29]
	s_delay_alu instid0(VALU_DEP_1) | instskip(NEXT) | instid1(VALU_DEP_1)
	v_div_fmas_f64 v[18:19], v[18:19], v[22:23], v[30:31]
	v_div_fixup_f64 v[14:15], v[18:19], v[14:15], 1.0
	s_delay_alu instid0(VALU_DEP_1)
	v_mul_f64_e32 v[16:17], v[16:17], v[14:15]
	s_cbranch_execz .LBB42_139
	s_branch .LBB42_140
.LBB42_136:                             ;   in Loop: Header=BB42_118 Depth=2
	v_mov_b64_e32 v[14:15], 1.0
	v_mov_b64_e32 v[16:17], 0
	s_branch .LBB42_142
.LBB42_137:                             ;   in Loop: Header=BB42_118 Depth=2
	v_xor_b32_e32 v5, 0x80000000, v3
	v_mov_b32_e32 v4, v2
                                        ; implicit-def: $vgpr14_vgpr15
                                        ; implicit-def: $vgpr16_vgpr17
	s_cbranch_execnz .LBB42_141
	s_branch .LBB42_142
.LBB42_138:                             ;   in Loop: Header=BB42_118 Depth=2
                                        ; implicit-def: $vgpr14_vgpr15
                                        ; implicit-def: $vgpr16_vgpr17
.LBB42_139:                             ;   in Loop: Header=BB42_118 Depth=2
	v_div_scale_f64 v[14:15], null, v[2:3], v[2:3], -v[4:5]
	v_div_scale_f64 v[22:23], vcc_lo, -v[4:5], v[2:3], -v[4:5]
	s_delay_alu instid0(VALU_DEP_2) | instskip(SKIP_1) | instid1(TRANS32_DEP_1)
	v_rcp_f64_e32 v[16:17], v[14:15]
	v_nop
	v_fma_f64 v[18:19], -v[14:15], v[16:17], 1.0
	s_delay_alu instid0(VALU_DEP_1) | instskip(NEXT) | instid1(VALU_DEP_1)
	v_fmac_f64_e32 v[16:17], v[16:17], v[18:19]
	v_fma_f64 v[18:19], -v[14:15], v[16:17], 1.0
	s_delay_alu instid0(VALU_DEP_1) | instskip(NEXT) | instid1(VALU_DEP_1)
	v_fmac_f64_e32 v[16:17], v[16:17], v[18:19]
	v_mul_f64_e32 v[18:19], v[22:23], v[16:17]
	s_delay_alu instid0(VALU_DEP_1) | instskip(NEXT) | instid1(VALU_DEP_1)
	v_fma_f64 v[14:15], -v[14:15], v[18:19], v[22:23]
	v_div_fmas_f64 v[14:15], v[14:15], v[16:17], v[18:19]
	s_delay_alu instid0(VALU_DEP_1) | instskip(NEXT) | instid1(VALU_DEP_1)
	v_div_fixup_f64 v[14:15], v[14:15], v[2:3], -v[4:5]
	v_fma_f64 v[16:17], v[14:15], v[14:15], 1.0
	s_delay_alu instid0(VALU_DEP_1) | instskip(SKIP_2) | instid1(SALU_CYCLE_1)
	v_cmp_gt_f64_e32 vcc_lo, 0x10000000, v[16:17]
	s_and_b32 s65, vcc_lo, exec_lo
	s_cselect_b32 s65, 0x100, 0
	v_ldexp_f64 v[16:17], v[16:17], s65
	s_cselect_b32 s65, 0xffffff80, 0
	s_delay_alu instid0(VALU_DEP_1) | instskip(SKIP_1) | instid1(TRANS32_DEP_1)
	v_rsq_f64_e32 v[18:19], v[16:17]
	v_cmp_class_f64_e64 vcc_lo, v[16:17], 0x260
	v_mul_f64_e32 v[22:23], v[16:17], v[18:19]
	v_mul_f64_e32 v[18:19], 0.5, v[18:19]
	s_delay_alu instid0(VALU_DEP_1) | instskip(NEXT) | instid1(VALU_DEP_1)
	v_fma_f64 v[28:29], -v[18:19], v[22:23], 0.5
	v_fmac_f64_e32 v[22:23], v[22:23], v[28:29]
	v_fmac_f64_e32 v[18:19], v[18:19], v[28:29]
	s_delay_alu instid0(VALU_DEP_2) | instskip(NEXT) | instid1(VALU_DEP_1)
	v_fma_f64 v[28:29], -v[22:23], v[22:23], v[16:17]
	v_fmac_f64_e32 v[22:23], v[28:29], v[18:19]
	s_delay_alu instid0(VALU_DEP_1) | instskip(NEXT) | instid1(VALU_DEP_1)
	v_fma_f64 v[28:29], -v[22:23], v[22:23], v[16:17]
	v_fmac_f64_e32 v[22:23], v[28:29], v[18:19]
	s_delay_alu instid0(VALU_DEP_1) | instskip(NEXT) | instid1(VALU_DEP_1)
	v_ldexp_f64 v[18:19], v[22:23], s65
	v_dual_cndmask_b32 v17, v19, v17 :: v_dual_cndmask_b32 v16, v18, v16
	s_delay_alu instid0(VALU_DEP_1) | instskip(NEXT) | instid1(VALU_DEP_1)
	v_div_scale_f64 v[18:19], null, v[16:17], v[16:17], 1.0
	v_rcp_f64_e32 v[22:23], v[18:19]
	v_nop
	s_delay_alu instid0(TRANS32_DEP_1) | instskip(NEXT) | instid1(VALU_DEP_1)
	v_fma_f64 v[28:29], -v[18:19], v[22:23], 1.0
	v_fmac_f64_e32 v[22:23], v[22:23], v[28:29]
	s_delay_alu instid0(VALU_DEP_1) | instskip(NEXT) | instid1(VALU_DEP_1)
	v_fma_f64 v[28:29], -v[18:19], v[22:23], 1.0
	v_fmac_f64_e32 v[22:23], v[22:23], v[28:29]
	v_div_scale_f64 v[28:29], vcc_lo, 1.0, v[16:17], 1.0
	s_delay_alu instid0(VALU_DEP_1) | instskip(NEXT) | instid1(VALU_DEP_1)
	v_mul_f64_e32 v[30:31], v[28:29], v[22:23]
	v_fma_f64 v[18:19], -v[18:19], v[30:31], v[28:29]
	s_delay_alu instid0(VALU_DEP_1) | instskip(NEXT) | instid1(VALU_DEP_1)
	v_div_fmas_f64 v[18:19], v[18:19], v[22:23], v[30:31]
	v_div_fixup_f64 v[16:17], v[18:19], v[16:17], 1.0
	s_delay_alu instid0(VALU_DEP_1)
	v_mul_f64_e32 v[14:15], v[14:15], v[16:17]
.LBB42_140:                             ;   in Loop: Header=BB42_118 Depth=2
	s_delay_alu instid0(VALU_DEP_1) | instskip(NEXT) | instid1(VALU_DEP_1)
	v_mul_f64_e32 v[18:19], v[2:3], v[16:17]
	v_fma_f64 v[4:5], v[4:5], v[14:15], -v[18:19]
	s_branch .LBB42_142
.LBB42_141:                             ;   in Loop: Header=BB42_118 Depth=2
	v_mov_b64_e32 v[14:15], 0
	v_mov_b64_e32 v[16:17], 1.0
.LBB42_142:                             ;   in Loop: Header=BB42_118 Depth=2
	s_clause 0x2
	global_store_b64 v7, v[4:5], s[48:49]
	global_load_b64 v[18:19], v7, s[44:45]
	global_load_b64 v[4:5], v7, s[102:103]
	s_cmp_ge_i32 s53, s24
	s_wait_loadcnt 0x1
	v_mul_f64_e32 v[22:23], v[14:15], v[18:19]
	s_wait_loadcnt 0x0
	s_delay_alu instid0(VALU_DEP_1)
	v_fmac_f64_e32 v[22:23], v[16:17], v[4:5]
	global_store_b64 v7, v[22:23], s[44:45]
	s_cbranch_scc0 .LBB42_145
; %bb.143:                              ;   in Loop: Header=BB42_118 Depth=2
	v_cmp_ne_u32_e32 vcc_lo, 1, v21
	s_cbranch_vccz .LBB42_146
.LBB42_144:                             ;   in Loop: Header=BB42_118 Depth=2
	s_and_not1_b32 vcc_lo, exec_lo, s52
	s_cbranch_vccnz .LBB42_117
	s_branch .LBB42_147
.LBB42_145:                             ;   in Loop: Header=BB42_118 Depth=2
	s_wait_xcnt 0x0
	s_add_nc_u64 s[44:45], s[86:87], s[92:93]
	global_load_b64 v[2:3], v7, s[44:45]
	s_wait_loadcnt 0x0
	v_mul_f64_e32 v[22:23], v[14:15], v[2:3]
	v_mul_f64_e64 v[2:3], v[2:3], -v[16:17]
	global_store_b64 v7, v[22:23], s[44:45]
	v_cmp_ne_u32_e32 vcc_lo, 1, v21
	s_cbranch_vccnz .LBB42_144
.LBB42_146:                             ;   in Loop: Header=BB42_118 Depth=2
	s_clause 0x1
	global_store_b64 v7, v[14:15], s[94:95]
	global_store_b64 v7, v[16:17], s[96:97]
	s_and_not1_b32 vcc_lo, exec_lo, s52
	s_cbranch_vccnz .LBB42_117
.LBB42_147:                             ;   in Loop: Header=BB42_118 Depth=2
	s_clause 0x1
	global_store_b64 v7, v[14:15], s[98:99]
	global_store_b64 v7, v[16:17], s[100:101]
	s_branch .LBB42_117
.LBB42_148:                             ;   in Loop: Header=BB42_11 Depth=1
	s_and_b32 s25, s59, exec_lo
	s_cselect_b32 s24, s24, 0
	s_delay_alu instid0(SALU_CYCLE_1)
	v_mov_b32_e32 v2, s24
	global_store_b64 v2, v[4:5], s[70:71] scale_offset
.LBB42_149:                             ;   in Loop: Header=BB42_11 Depth=1
	s_wait_xcnt 0x0
	s_or_b32 exec_lo, exec_lo, s57
	s_delay_alu instid0(SALU_CYCLE_1)
	s_and_not1_b32 vcc_lo, exec_lo, vcc_hi
	s_wait_storecnt 0x0
	s_barrier_signal -1
	s_barrier_wait -1
	s_cbranch_vccz .LBB42_152
; %bb.150:                              ;   in Loop: Header=BB42_11 Depth=1
	s_and_not1_b32 vcc_lo, exec_lo, s50
	s_cbranch_vccz .LBB42_158
.LBB42_151:                             ;   in Loop: Header=BB42_11 Depth=1
	s_and_not1_b32 vcc_lo, exec_lo, s51
	s_cbranch_vccnz .LBB42_10
	s_branch .LBB42_164
.LBB42_152:                             ;   in Loop: Header=BB42_11 Depth=1
	s_and_saveexec_b32 s24, s0
	s_cbranch_execz .LBB42_157
; %bb.153:                              ;   in Loop: Header=BB42_11 Depth=1
	s_load_b32 s57, s[42:43], 0xc
	v_readlane_b32 s70, v40, 8
	v_readlane_b32 s71, v40, 9
	s_lshl_b64 s[48:49], s[60:61], 4
	s_add_co_i32 s52, s56, -1
	s_cmp_eq_u32 s64, 0
	s_add_nc_u64 s[44:45], s[36:37], s[48:49]
	s_add_nc_u64 s[48:49], s[70:71], s[48:49]
	s_cselect_b32 s70, s56, 0
	s_cselect_b32 s78, s52, 0
	s_lshl_b32 s69, s64, 1
	s_ashr_i32 s59, s58, 31
	s_ashr_i32 s65, s64, 31
	s_add_co_i32 s80, s69, -2
	s_lshl_b64 s[82:83], s[58:59], 3
	s_ashr_i32 s79, s78, 31
	s_lshl_b64 s[52:53], s[64:65], 1
	s_ashr_i32 s71, s70, 31
	s_ashr_i32 s81, s80, 31
	s_sub_nc_u64 s[82:83], s[82:83], s[62:63]
	s_lshl_b64 s[84:85], s[78:79], 3
	s_lshl_b64 s[86:87], s[66:67], 3
	v_dual_add_nc_u32 v14, s70, v24 :: v_dual_mov_b32 v16, v24
	v_mov_b32_e32 v27, v0
	s_add_nc_u64 s[72:73], s[52:53], s[70:71]
	s_lshl_b64 s[76:77], s[80:81], 4
	s_wait_kmcnt 0x0
	s_and_b32 s52, s57, 0xffff
	s_add_nc_u64 s[78:79], s[82:83], 40
	s_add_nc_u64 s[82:83], s[84:85], s[86:87]
	s_lshl_b64 s[84:85], s[80:81], 3
	s_mov_b32 s25, 0
	s_or_b64 s[74:75], s[80:81], 1
	s_or_b64 s[76:77], s[76:77], 16
	s_mul_i32 s53, s11, s52
	s_add_nc_u64 s[80:81], s[18:19], s[82:83]
	s_or_b64 s[82:83], s[84:85], 8
.LBB42_154:                             ;   Parent Loop BB42_11 Depth=1
                                        ; =>  This Loop Header: Depth=2
                                        ;       Child Loop BB42_155 Depth 3
	v_mad_u32 v2, v27, s11, s70
	v_dual_ashrrev_i32 v17, 31, v16 :: v_dual_ashrrev_i32 v15, 31, v14
	s_mov_b64 s[84:85], s[80:81]
	s_mov_b32 s57, s56
	s_delay_alu instid0(VALU_DEP_1) | instskip(NEXT) | instid1(VALU_DEP_2)
	v_add_nc_u64_e32 v[18:19], s[72:73], v[16:17]
	v_lshl_add_u64 v[20:21], v[14:15], 4, s[48:49]
	global_load_b128 v[2:5], v2, s[44:45] scale_offset
.LBB42_155:                             ;   Parent Loop BB42_11 Depth=1
                                        ;     Parent Loop BB42_154 Depth=2
                                        ; =>    This Inner Loop Header: Depth=3
	v_lshl_add_u64 v[22:23], v[18:19], 4, s[44:45]
	s_add_nc_u64 s[86:87], s[84:85], s[78:79]
	v_add_nc_u64_e32 v[18:19], s[74:75], v[18:19]
	s_clause 0x1
	global_load_b64 v[36:37], v7, s[84:85] offset:32
	global_load_b64 v[38:39], v7, s[86:87]
	global_load_b128 v[28:31], v[22:23], off offset:-16
	s_add_co_i32 s57, s57, -1
	s_wait_xcnt 0x2
	s_add_nc_u64 s[84:85], s[84:85], s[82:83]
	s_cmp_eq_u32 s57, 0
	s_wait_loadcnt 0x0
	v_mul_f64_e32 v[32:33], v[28:29], v[38:39]
	v_mul_f64_e32 v[34:35], v[30:31], v[38:39]
	s_delay_alu instid0(VALU_DEP_2) | instskip(NEXT) | instid1(VALU_DEP_2)
	v_fma_f64 v[32:33], v[2:3], v[36:37], -v[32:33]
	v_fma_f64 v[34:35], v[4:5], v[36:37], -v[34:35]
	v_mul_f64_e32 v[2:3], v[2:3], v[38:39]
	v_mul_f64_e32 v[4:5], v[4:5], v[38:39]
	global_store_b128 v[20:21], v[32:35], off offset:-8
	v_fmac_f64_e32 v[2:3], v[28:29], v[36:37]
	v_fmac_f64_e32 v[4:5], v[30:31], v[36:37]
	s_wait_xcnt 0x0
	v_add_nc_u64_e32 v[20:21], s[76:77], v[20:21]
	s_cbranch_scc0 .LBB42_155
; %bb.156:                              ;   in Loop: Header=BB42_154 Depth=2
	v_dual_add_nc_u32 v27, s52, v27 :: v_dual_add_nc_u32 v16, s53, v16
	v_add_nc_u32_e32 v14, s53, v14
	global_store_b128 v[22:23], v[2:5], off offset:-16
	v_cmp_le_i32_e32 vcc_lo, s29, v27
	s_or_b32 s25, vcc_lo, s25
	s_wait_xcnt 0x0
	s_and_not1_b32 exec_lo, exec_lo, s25
	s_cbranch_execnz .LBB42_154
.LBB42_157:                             ;   in Loop: Header=BB42_11 Depth=1
	s_or_b32 exec_lo, exec_lo, s24
	s_delay_alu instid0(SALU_CYCLE_1)
	s_and_not1_b32 vcc_lo, exec_lo, s50
	s_cbranch_vccnz .LBB42_151
.LBB42_158:                             ;   in Loop: Header=BB42_11 Depth=1
	s_and_saveexec_b32 s24, s1
	s_cbranch_execz .LBB42_163
; %bb.159:                              ;   in Loop: Header=BB42_11 Depth=1
	s_mul_i32 s44, s60, s9
	s_load_b32 s53, s[42:43], 0xc
	s_ashr_i32 s45, s44, 31
	s_add_co_i32 s48, s56, -1
	s_lshl_b64 s[44:45], s[44:45], 4
	s_cmp_eq_u32 s64, 0
	s_mov_b32 s25, 0
	s_cselect_b32 s57, s56, 0
	s_cselect_b32 s48, s48, 0
	s_lshl_b32 s65, s64, 1
	s_mul_i32 s52, s57, s9
	s_add_co_i32 s57, s57, s65
	s_add_co_i32 s72, s48, s68
	s_add_co_i32 s57, s57, -1
	s_ashr_i32 s59, s58, 31
	v_mad_u32 v16, s9, s57, v0
	s_ashr_i32 s73, s72, 31
	s_add_co_i32 s74, s65, -2
	s_lshl_b64 s[70:71], s[66:67], 3
	s_lshl_b64 s[48:49], s[58:59], 3
	s_lshl_b64 s[72:73], s[72:73], 3
	s_ashr_i32 s75, s74, 31
	v_dual_mov_b32 v18, v0 :: v_dual_add_nc_u32 v17, s52, v0
	s_sub_nc_u64 s[48:49], s[48:49], s[62:63]
	s_add_nc_u64 s[70:71], s[70:71], s[72:73]
	s_lshl_b64 s[72:73], s[74:75], 3
	s_add_nc_u64 s[44:45], s[34:35], s[44:45]
	s_add_nc_u64 s[48:49], s[48:49], 40
	s_wait_kmcnt 0x0
	s_and_b32 s53, s53, 0xffff
	s_add_nc_u64 s[70:71], s[18:19], s[70:71]
	s_or_b64 s[72:73], s[72:73], 8
	s_mul_i32 s7, s9, s7
.LBB42_160:                             ;   Parent Loop BB42_11 Depth=1
                                        ; =>  This Loop Header: Depth=2
                                        ;       Child Loop BB42_161 Depth 3
	v_add_nc_u32_e32 v2, s52, v18
	s_mov_b32 s57, 0
	s_mov_b64 s[74:75], s[70:71]
	s_mov_b32 s59, s56
	global_load_b128 v[2:5], v2, s[44:45] scale_offset
.LBB42_161:                             ;   Parent Loop BB42_11 Depth=1
                                        ;     Parent Loop BB42_160 Depth=2
                                        ; =>    This Inner Loop Header: Depth=3
	s_wait_xcnt 0x1
	v_add_nc_u32_e32 v14, s57, v16
	s_add_nc_u64 s[76:77], s[74:75], s[48:49]
	s_add_co_i32 s59, s59, -1
	s_clause 0x1
	global_load_b64 v[32:33], v7, s[74:75] offset:32
	global_load_b64 v[34:35], v7, s[76:77]
	global_load_b128 v[20:23], v14, s[44:45] scale_offset
	s_wait_xcnt 0x2
	s_add_nc_u64 s[74:75], s[74:75], s[72:73]
	v_add_nc_u32_e32 v15, s57, v17
	s_add_co_i32 s57, s57, s7
	s_cmp_eq_u32 s59, 0
	s_wait_loadcnt 0x0
	v_mul_f64_e32 v[28:29], v[20:21], v[34:35]
	v_mul_f64_e32 v[30:31], v[22:23], v[34:35]
	s_delay_alu instid0(VALU_DEP_2) | instskip(NEXT) | instid1(VALU_DEP_2)
	v_fma_f64 v[28:29], v[2:3], v[32:33], -v[28:29]
	v_fma_f64 v[30:31], v[4:5], v[32:33], -v[30:31]
	v_mul_f64_e32 v[2:3], v[2:3], v[34:35]
	v_mul_f64_e32 v[4:5], v[4:5], v[34:35]
	global_store_b128 v15, v[28:31], s[44:45] scale_offset
	v_fmac_f64_e32 v[2:3], v[20:21], v[32:33]
	v_fmac_f64_e32 v[4:5], v[22:23], v[32:33]
	s_cbranch_scc0 .LBB42_161
; %bb.162:                              ;   in Loop: Header=BB42_160 Depth=2
	v_dual_add_nc_u32 v18, s53, v18 :: v_dual_add_nc_u32 v17, s53, v17
	s_wait_xcnt 0x0
	v_dual_ashrrev_i32 v15, 31, v14 :: v_dual_add_nc_u32 v16, s53, v16
	s_delay_alu instid0(VALU_DEP_2) | instskip(NEXT) | instid1(VALU_DEP_2)
	v_cmp_le_i32_e32 vcc_lo, s30, v18
	v_lshl_add_u64 v[14:15], v[14:15], 4, s[44:45]
	s_or_b32 s25, vcc_lo, s25
	global_store_b128 v[14:15], v[2:5], off
	s_wait_xcnt 0x0
	s_and_not1_b32 exec_lo, exec_lo, s25
	s_cbranch_execnz .LBB42_160
.LBB42_163:                             ;   in Loop: Header=BB42_11 Depth=1
	s_or_b32 exec_lo, exec_lo, s24
	s_delay_alu instid0(SALU_CYCLE_1)
	s_and_not1_b32 vcc_lo, exec_lo, s51
	s_cbranch_vccnz .LBB42_10
.LBB42_164:                             ;   in Loop: Header=BB42_11 Depth=1
	s_and_saveexec_b32 s7, s6
	s_cbranch_execz .LBB42_9
; %bb.165:                              ;   in Loop: Header=BB42_11 Depth=1
	s_load_b32 s25, s[42:43], 0xc
	s_lshl_b64 s[52:53], s[60:61], 4
	s_add_co_i32 s49, s56, -1
	s_cmp_eq_u32 s64, 0
	v_mov_b32_e32 v27, v0
	s_cselect_b32 s49, s49, 0
	s_cselect_b32 s48, s56, 0
	s_ashr_i32 s59, s58, 31
	s_lshl_b64 s[60:61], s[66:67], 3
	s_lshl_b32 s57, s64, 1
	s_add_co_i32 s66, s49, s68
	s_lshl_b64 s[58:59], s[58:59], 3
	s_add_co_i32 s68, s57, -2
	s_ashr_i32 s67, s66, 31
	s_ashr_i32 s65, s64, 31
	s_sub_nc_u64 s[58:59], s[58:59], s[62:63]
	s_lshl_b64 s[62:63], s[66:67], 3
	s_ashr_i32 s69, s68, 31
	v_dual_add_nc_u32 v14, s48, v25 :: v_dual_mov_b32 v16, v25
	s_add_nc_u64 s[60:61], s[60:61], s[62:63]
	s_wait_kmcnt 0x0
	s_and_b32 s25, s25, 0xffff
	s_lshl_b64 s[62:63], s[68:69], 3
	s_lshl_b64 s[64:65], s[64:65], 1
	s_ashr_i32 s49, s48, 31
	s_lshl_b64 s[70:71], s[68:69], 4
	s_mov_b32 s24, 0
	s_add_nc_u64 s[44:45], s[40:41], s[52:53]
	s_add_nc_u64 s[58:59], s[58:59], 40
	s_add_nc_u64 s[60:61], s[18:19], s[60:61]
	s_or_b64 s[62:63], s[62:63], 8
	s_add_nc_u64 s[64:65], s[64:65], s[48:49]
	s_mul_i32 s49, s39, s25
	s_or_b64 s[66:67], s[68:69], 1
	s_add_nc_u64 s[68:69], s[54:55], s[52:53]
	s_or_b64 s[70:71], s[70:71], 16
.LBB42_166:                             ;   Parent Loop BB42_11 Depth=1
                                        ; =>  This Loop Header: Depth=2
                                        ;       Child Loop BB42_167 Depth 3
	v_mad_u32 v2, v27, s39, s48
	v_dual_ashrrev_i32 v17, 31, v16 :: v_dual_ashrrev_i32 v15, 31, v14
	s_mov_b64 s[72:73], s[60:61]
	s_mov_b32 s52, s56
	s_delay_alu instid0(VALU_DEP_1) | instskip(NEXT) | instid1(VALU_DEP_2)
	v_add_nc_u64_e32 v[18:19], s[64:65], v[16:17]
	v_lshl_add_u64 v[20:21], v[14:15], 4, s[68:69]
	global_load_b128 v[2:5], v2, s[44:45] scale_offset
.LBB42_167:                             ;   Parent Loop BB42_11 Depth=1
                                        ;     Parent Loop BB42_166 Depth=2
                                        ; =>    This Inner Loop Header: Depth=3
	v_lshl_add_u64 v[22:23], v[18:19], 4, s[44:45]
	s_add_nc_u64 s[74:75], s[72:73], s[58:59]
	v_add_nc_u64_e32 v[18:19], s[66:67], v[18:19]
	s_clause 0x1
	global_load_b64 v[36:37], v7, s[72:73] offset:32
	global_load_b64 v[38:39], v7, s[74:75]
	global_load_b128 v[28:31], v[22:23], off offset:-16
	s_add_co_i32 s52, s52, -1
	s_wait_xcnt 0x2
	s_add_nc_u64 s[72:73], s[72:73], s[62:63]
	s_cmp_eq_u32 s52, 0
	s_wait_loadcnt 0x0
	v_mul_f64_e32 v[32:33], v[28:29], v[38:39]
	v_mul_f64_e32 v[34:35], v[30:31], v[38:39]
	s_delay_alu instid0(VALU_DEP_2) | instskip(NEXT) | instid1(VALU_DEP_2)
	v_fma_f64 v[32:33], v[2:3], v[36:37], -v[32:33]
	v_fma_f64 v[34:35], v[4:5], v[36:37], -v[34:35]
	v_mul_f64_e32 v[2:3], v[2:3], v[38:39]
	v_mul_f64_e32 v[4:5], v[4:5], v[38:39]
	global_store_b128 v[20:21], v[32:35], off offset:-8
	v_fmac_f64_e32 v[2:3], v[28:29], v[36:37]
	v_fmac_f64_e32 v[4:5], v[30:31], v[36:37]
	s_wait_xcnt 0x0
	v_add_nc_u64_e32 v[20:21], s[70:71], v[20:21]
	s_cbranch_scc0 .LBB42_167
; %bb.168:                              ;   in Loop: Header=BB42_166 Depth=2
	v_dual_add_nc_u32 v27, s25, v27 :: v_dual_add_nc_u32 v16, s49, v16
	v_add_nc_u32_e32 v14, s49, v14
	global_store_b128 v[22:23], v[2:5], off offset:-16
	v_cmp_le_i32_e32 vcc_lo, s31, v27
	s_or_b32 s24, vcc_lo, s24
	s_wait_xcnt 0x0
	s_and_not1_b32 exec_lo, exec_lo, s24
	s_cbranch_execnz .LBB42_166
	s_branch .LBB42_9
.LBB42_169:                             ;   in Loop: Header=BB42_11 Depth=1
	v_mov_b32_e32 v21, s7
	global_load_b64 v[2:3], v21, s[82:83] offset:-8 scale_offset
	s_wait_loadcnt 0x0
	s_wait_xcnt 0x1
	v_mul_f64_e32 v[22:23], v[14:15], v[2:3]
	v_mul_f64_e64 v[2:3], v[2:3], -v[16:17]
	global_store_b64 v21, v[22:23], s[82:83] offset:-8 scale_offset
	s_and_b32 s24, s28, s24
	s_wait_xcnt 0x0
	v_cndmask_b32_e64 v21, 0, 1, s24
	s_and_not1_b32 vcc_lo, exec_lo, s24
	s_cbranch_vccnz .LBB42_113
.LBB42_170:                             ;   in Loop: Header=BB42_11 Depth=1
	s_wait_xcnt 0x0
	v_mov_b32_e32 v22, s74
	s_clause 0x1
	global_store_b64 v7, v[14:15], s[88:89] offset:24
	global_store_b64 v22, v[16:17], s[88:89] offset:24 scale_offset
	s_xor_b32 s24, s59, -1
	s_delay_alu instid0(SALU_CYCLE_1) | instskip(NEXT) | instid1(SALU_CYCLE_1)
	s_or_b32 s44, s104, s24
	s_and_b32 vcc_lo, exec_lo, s44
	s_cbranch_vccz .LBB42_114
	s_branch .LBB42_115
.LBB42_171:
	s_endpgm
	.section	.rodata,"a",@progbits
	.p2align	6, 0x0
	.amdhsa_kernel _ZN9rocsolver6v33100L13bdsqr_computeILi256E19rocblas_complex_numIdEdPS3_S4_S4_EEviiiiPT1_lS6_lT2_iilT3_iilT4_iiliS5_S5_S5_S5_PiS6_ilSA_
		.amdhsa_group_segment_fixed_size 2072
		.amdhsa_private_segment_fixed_size 0
		.amdhsa_kernarg_size 456
		.amdhsa_user_sgpr_count 2
		.amdhsa_user_sgpr_dispatch_ptr 0
		.amdhsa_user_sgpr_queue_ptr 0
		.amdhsa_user_sgpr_kernarg_segment_ptr 1
		.amdhsa_user_sgpr_dispatch_id 0
		.amdhsa_user_sgpr_kernarg_preload_length 0
		.amdhsa_user_sgpr_kernarg_preload_offset 0
		.amdhsa_user_sgpr_private_segment_size 0
		.amdhsa_wavefront_size32 1
		.amdhsa_uses_dynamic_stack 0
		.amdhsa_enable_private_segment 0
		.amdhsa_system_sgpr_workgroup_id_x 1
		.amdhsa_system_sgpr_workgroup_id_y 1
		.amdhsa_system_sgpr_workgroup_id_z 1
		.amdhsa_system_sgpr_workgroup_info 0
		.amdhsa_system_vgpr_workitem_id 0
		.amdhsa_next_free_vgpr 41
		.amdhsa_next_free_sgpr 105
		.amdhsa_named_barrier_count 0
		.amdhsa_reserve_vcc 1
		.amdhsa_float_round_mode_32 0
		.amdhsa_float_round_mode_16_64 0
		.amdhsa_float_denorm_mode_32 3
		.amdhsa_float_denorm_mode_16_64 3
		.amdhsa_fp16_overflow 0
		.amdhsa_memory_ordered 1
		.amdhsa_forward_progress 1
		.amdhsa_inst_pref_size 72
		.amdhsa_round_robin_scheduling 0
		.amdhsa_exception_fp_ieee_invalid_op 0
		.amdhsa_exception_fp_denorm_src 0
		.amdhsa_exception_fp_ieee_div_zero 0
		.amdhsa_exception_fp_ieee_overflow 0
		.amdhsa_exception_fp_ieee_underflow 0
		.amdhsa_exception_fp_ieee_inexact 0
		.amdhsa_exception_int_div_zero 0
	.end_amdhsa_kernel
	.section	.text._ZN9rocsolver6v33100L13bdsqr_computeILi256E19rocblas_complex_numIdEdPS3_S4_S4_EEviiiiPT1_lS6_lT2_iilT3_iilT4_iiliS5_S5_S5_S5_PiS6_ilSA_,"axG",@progbits,_ZN9rocsolver6v33100L13bdsqr_computeILi256E19rocblas_complex_numIdEdPS3_S4_S4_EEviiiiPT1_lS6_lT2_iilT3_iilT4_iiliS5_S5_S5_S5_PiS6_ilSA_,comdat
.Lfunc_end42:
	.size	_ZN9rocsolver6v33100L13bdsqr_computeILi256E19rocblas_complex_numIdEdPS3_S4_S4_EEviiiiPT1_lS6_lT2_iilT3_iilT4_iiliS5_S5_S5_S5_PiS6_ilSA_, .Lfunc_end42-_ZN9rocsolver6v33100L13bdsqr_computeILi256E19rocblas_complex_numIdEdPS3_S4_S4_EEviiiiPT1_lS6_lT2_iilT3_iilT4_iiliS5_S5_S5_S5_PiS6_ilSA_
                                        ; -- End function
	.set _ZN9rocsolver6v33100L13bdsqr_computeILi256E19rocblas_complex_numIdEdPS3_S4_S4_EEviiiiPT1_lS6_lT2_iilT3_iilT4_iiliS5_S5_S5_S5_PiS6_ilSA_.num_vgpr, 41
	.set _ZN9rocsolver6v33100L13bdsqr_computeILi256E19rocblas_complex_numIdEdPS3_S4_S4_EEviiiiPT1_lS6_lT2_iilT3_iilT4_iiliS5_S5_S5_S5_PiS6_ilSA_.num_agpr, 0
	.set _ZN9rocsolver6v33100L13bdsqr_computeILi256E19rocblas_complex_numIdEdPS3_S4_S4_EEviiiiPT1_lS6_lT2_iilT3_iilT4_iiliS5_S5_S5_S5_PiS6_ilSA_.numbered_sgpr, 105
	.set _ZN9rocsolver6v33100L13bdsqr_computeILi256E19rocblas_complex_numIdEdPS3_S4_S4_EEviiiiPT1_lS6_lT2_iilT3_iilT4_iiliS5_S5_S5_S5_PiS6_ilSA_.num_named_barrier, 0
	.set _ZN9rocsolver6v33100L13bdsqr_computeILi256E19rocblas_complex_numIdEdPS3_S4_S4_EEviiiiPT1_lS6_lT2_iilT3_iilT4_iiliS5_S5_S5_S5_PiS6_ilSA_.private_seg_size, 0
	.set _ZN9rocsolver6v33100L13bdsqr_computeILi256E19rocblas_complex_numIdEdPS3_S4_S4_EEviiiiPT1_lS6_lT2_iilT3_iilT4_iiliS5_S5_S5_S5_PiS6_ilSA_.uses_vcc, 1
	.set _ZN9rocsolver6v33100L13bdsqr_computeILi256E19rocblas_complex_numIdEdPS3_S4_S4_EEviiiiPT1_lS6_lT2_iilT3_iilT4_iiliS5_S5_S5_S5_PiS6_ilSA_.uses_flat_scratch, 0
	.set _ZN9rocsolver6v33100L13bdsqr_computeILi256E19rocblas_complex_numIdEdPS3_S4_S4_EEviiiiPT1_lS6_lT2_iilT3_iilT4_iiliS5_S5_S5_S5_PiS6_ilSA_.has_dyn_sized_stack, 0
	.set _ZN9rocsolver6v33100L13bdsqr_computeILi256E19rocblas_complex_numIdEdPS3_S4_S4_EEviiiiPT1_lS6_lT2_iilT3_iilT4_iiliS5_S5_S5_S5_PiS6_ilSA_.has_recursion, 0
	.set _ZN9rocsolver6v33100L13bdsqr_computeILi256E19rocblas_complex_numIdEdPS3_S4_S4_EEviiiiPT1_lS6_lT2_iilT3_iilT4_iiliS5_S5_S5_S5_PiS6_ilSA_.has_indirect_call, 0
	.section	.AMDGPU.csdata,"",@progbits
; Kernel info:
; codeLenInByte = 9212
; TotalNumSgprs: 107
; NumVgprs: 41
; ScratchSize: 0
; MemoryBound: 0
; FloatMode: 240
; IeeeMode: 1
; LDSByteSize: 2072 bytes/workgroup (compile time only)
; SGPRBlocks: 0
; VGPRBlocks: 2
; NumSGPRsForWavesPerEU: 107
; NumVGPRsForWavesPerEU: 41
; NamedBarCnt: 0
; Occupancy: 16
; WaveLimiterHint : 1
; COMPUTE_PGM_RSRC2:SCRATCH_EN: 0
; COMPUTE_PGM_RSRC2:USER_SGPR: 2
; COMPUTE_PGM_RSRC2:TRAP_HANDLER: 0
; COMPUTE_PGM_RSRC2:TGID_X_EN: 1
; COMPUTE_PGM_RSRC2:TGID_Y_EN: 1
; COMPUTE_PGM_RSRC2:TGID_Z_EN: 1
; COMPUTE_PGM_RSRC2:TIDIG_COMP_CNT: 0
	.section	.text._ZN9rocsolver6v33100L12bdsqr_rotateI19rocblas_complex_numIdEdPS3_S4_S4_EEviiiiT1_iilT2_iilT3_iiliPiPT0_ilS8_,"axG",@progbits,_ZN9rocsolver6v33100L12bdsqr_rotateI19rocblas_complex_numIdEdPS3_S4_S4_EEviiiiT1_iilT2_iilT3_iiliPiPT0_ilS8_,comdat
	.globl	_ZN9rocsolver6v33100L12bdsqr_rotateI19rocblas_complex_numIdEdPS3_S4_S4_EEviiiiT1_iilT2_iilT3_iiliPiPT0_ilS8_ ; -- Begin function _ZN9rocsolver6v33100L12bdsqr_rotateI19rocblas_complex_numIdEdPS3_S4_S4_EEviiiiT1_iilT2_iilT3_iiliPiPT0_ilS8_
	.p2align	8
	.type	_ZN9rocsolver6v33100L12bdsqr_rotateI19rocblas_complex_numIdEdPS3_S4_S4_EEviiiiT1_iilT2_iilT3_iiliPiPT0_ilS8_,@function
_ZN9rocsolver6v33100L12bdsqr_rotateI19rocblas_complex_numIdEdPS3_S4_S4_EEviiiiT1_iilT2_iilT3_iiliPiPT0_ilS8_: ; @_ZN9rocsolver6v33100L12bdsqr_rotateI19rocblas_complex_numIdEdPS3_S4_S4_EEviiiiT1_iilT2_iilT3_iiliPiPT0_ilS8_
; %bb.0:
	s_load_b128 s[12:15], s[0:1], 0x78
	s_bfe_u32 s2, ttmp6, 0x40014
	s_lshr_b32 s3, ttmp7, 16
	s_add_co_i32 s2, s2, 1
	s_bfe_u32 s4, ttmp6, 0x40008
	s_mul_i32 s2, s3, s2
	s_getreg_b32 s26, hwreg(HW_REG_IB_STS2, 6, 4)
	s_add_co_i32 s4, s4, s2
	s_cmp_eq_u32 s26, 0
	s_mov_b32 s25, 0
	s_cselect_b32 s24, s3, s4
	s_wait_kmcnt 0x0
	s_load_b32 s2, s[14:15], s24 offset:0x8 scale_offset
	s_wait_kmcnt 0x0
	s_cmp_lg_u32 s2, 0
	s_cbranch_scc1 .LBB43_25
; %bb.1:
	s_load_b256 s[4:11], s[0:1], 0x10
	s_mov_b64 s[20:21], 0
	s_mov_b64 s[22:23], 0
	s_wait_kmcnt 0x0
	s_cmp_eq_u64 s[4:5], 0
	s_cbranch_scc1 .LBB43_3
; %bb.2:
	s_mul_u64 s[2:3], s[8:9], s[24:25]
	s_ashr_i32 s9, s6, 31
	s_lshl_b64 s[2:3], s[2:3], 4
	s_mov_b32 s8, s6
	s_add_nc_u64 s[2:3], s[4:5], s[2:3]
	s_lshl_b64 s[4:5], s[8:9], 4
	s_delay_alu instid0(SALU_CYCLE_1)
	s_add_nc_u64 s[22:23], s[2:3], s[4:5]
.LBB43_3:
	s_clause 0x1
	s_load_b64 s[2:3], s[0:1], 0x30
	s_load_b128 s[16:19], s[0:1], 0x38
	s_cmp_eq_u64 s[10:11], 0
	s_cbranch_scc1 .LBB43_5
; %bb.4:
	s_wait_kmcnt 0x0
	s_mul_u64 s[4:5], s[16:17], s[24:25]
	s_ashr_i32 s9, s2, 31
	s_lshl_b64 s[4:5], s[4:5], 4
	s_mov_b32 s8, s2
	s_add_nc_u64 s[4:5], s[10:11], s[4:5]
	s_lshl_b64 s[8:9], s[8:9], 4
	s_delay_alu instid0(SALU_CYCLE_1)
	s_add_nc_u64 s[20:21], s[4:5], s[8:9]
.LBB43_5:
	s_wait_kmcnt 0x0
	s_load_b64 s[16:17], s[0:1], 0x48
	s_cmp_eq_u64 s[18:19], 0
	s_mov_b64 s[4:5], 0
	s_cbranch_scc1 .LBB43_7
; %bb.6:
	s_load_b64 s[4:5], s[0:1], 0x50
	s_wait_kmcnt 0x0
	s_ashr_i32 s9, s16, 31
	s_mov_b32 s8, s16
	s_delay_alu instid0(SALU_CYCLE_1) | instskip(SKIP_1) | instid1(SALU_CYCLE_1)
	s_lshl_b64 s[8:9], s[8:9], 4
	s_mul_u64 s[4:5], s[4:5], s[24:25]
	s_lshl_b64 s[4:5], s[4:5], 4
	s_delay_alu instid0(SALU_CYCLE_1) | instskip(NEXT) | instid1(SALU_CYCLE_1)
	s_add_nc_u64 s[4:5], s[18:19], s[4:5]
	s_add_nc_u64 s[4:5], s[4:5], s[8:9]
.LBB43_7:
	s_load_b128 s[8:11], s[0:1], 0x60
	s_bfe_u32 s2, ttmp6, 0x40010
	s_and_b32 s6, ttmp7, 0xffff
	s_add_co_i32 s2, s2, 1
	s_bfe_u32 s14, ttmp6, 0x40004
	s_mul_i32 s2, s6, s2
	s_mul_u64 s[12:13], s[12:13], s[24:25]
	s_add_co_i32 s14, s14, s2
	s_cmp_eq_u32 s26, 0
	s_cselect_b32 s28, s6, s14
	s_lshl_b64 s[12:13], s[12:13], 3
	s_wait_kmcnt 0x0
	s_add_nc_u64 s[10:11], s[10:11], s[12:13]
	s_load_b64 s[12:13], s[10:11], 0x10
	s_wait_kmcnt 0x0
	v_cvt_i32_f64_e32 v10, s[12:13]
	s_delay_alu instid0(VALU_DEP_1)
	v_cmp_ge_i32_e32 vcc_lo, s28, v10
	s_cbranch_vccnz .LBB43_25
; %bb.8:
	s_clause 0x3
	s_load_b128 s[12:15], s[0:1], 0x0
	s_load_b32 s2, s[0:1], 0x94
	s_load_b32 s29, s[0:1], 0x58
	s_load_b32 s30, s[0:1], 0x70
	s_bfe_u32 s6, ttmp6, 0x4000c
	s_and_b32 s16, ttmp6, 15
	s_add_co_i32 s6, s6, 1
	s_wait_xcnt 0x0
	s_add_nc_u64 s[0:1], s[0:1], 0x88
	s_mul_i32 s6, ttmp9, s6
	s_load_b32 s31, s[0:1], 0x4
	s_add_co_i32 s16, s16, s6
	v_mov_b32_e32 v14, 0
	s_wait_kmcnt 0x0
	s_mul_i32 s12, s24, s12
	s_and_b32 s2, 0xffff, s2
	s_lshl_b32 s18, s12, 1
	s_delay_alu instid0(SALU_CYCLE_1) | instskip(NEXT) | instid1(SALU_CYCLE_1)
	s_ashr_i32 s19, s18, 31
	s_lshl_b64 s[18:19], s[18:19], 2
	s_cmp_eq_u32 s26, 0
	s_cselect_b32 s6, ttmp9, s16
	s_cmp_eq_u32 s13, 0
	v_mad_u32 v11, s6, s2, v0
	s_cselect_b32 s33, -1, 0
	s_cmp_lg_u64 s[22:23], 0
	s_cselect_b32 s1, -1, 0
	s_delay_alu instid0(VALU_DEP_1)
	v_cmp_gt_i32_e32 vcc_lo, s13, v11
	v_cmp_gt_i32_e64 s0, s14, v11
	v_mul_lo_u32 v12, v11, s7
	v_mul_lo_u32 v13, v11, s17
	s_add_nc_u64 s[6:7], s[8:9], s[18:19]
	s_and_b32 s34, vcc_lo, s1
	s_cmp_lg_u64 s[20:21], 0
	v_cmp_gt_i32_e32 vcc_lo, s15, v11
	s_cselect_b32 s1, -1, 0
	s_delay_alu instid0(SALU_CYCLE_1) | instskip(SKIP_2) | instid1(SALU_CYCLE_1)
	s_and_b32 s35, s0, s1
	s_cmp_lg_u64 s[4:5], 0
	s_cselect_b32 s0, -1, 0
	s_and_b32 s36, vcc_lo, s0
	s_branch .LBB43_12
.LBB43_9:                               ;   in Loop: Header=BB43_12 Depth=1
	v_sub_nc_u64_e64 v[4:5], v[4:5], s[16:17]
	s_delay_alu instid0(VALU_DEP_1)
	v_add_nc_u64_e32 v[4:5], s[8:9], v[4:5]
	global_store_b128 v[4:5], v[0:3], off
.LBB43_10:                              ;   in Loop: Header=BB43_12 Depth=1
	s_wait_xcnt 0x0
	s_or_b32 exec_lo, exec_lo, s25
.LBB43_11:                              ;   in Loop: Header=BB43_12 Depth=1
	s_add_co_i32 s28, s31, s28
	s_delay_alu instid0(SALU_CYCLE_1)
	v_cmp_lt_i32_e32 vcc_lo, s28, v10
	s_cbranch_vccz .LBB43_25
.LBB43_12:                              ; =>This Loop Header: Depth=1
                                        ;     Child Loop BB43_16 Depth 2
                                        ;     Child Loop BB43_20 Depth 2
	;; [unrolled: 1-line block ×3, first 2 shown]
	s_lshl_b32 s0, s28, 2
	s_delay_alu instid0(SALU_CYCLE_1) | instskip(NEXT) | instid1(SALU_CYCLE_1)
	s_ashr_i32 s1, s0, 31
	s_lshl_b64 s[0:1], s[0:1], 2
	s_wait_xcnt 0x0
	s_add_nc_u64 s[8:9], s[6:7], s[0:1]
	s_load_b96 s[0:2], s[8:9], 0x0
	s_wait_kmcnt 0x0
	s_cmp_le_i32 s2, s1
	s_cbranch_scc1 .LBB43_11
; %bb.13:                               ;   in Loop: Header=BB43_12 Depth=1
	s_wait_xcnt 0x0
	s_load_b32 s8, s[8:9], 0xc
	s_wait_kmcnt 0x0
	s_cmp_lt_i32 s8, s29
	s_wait_xcnt 0x0
	s_cselect_b32 s8, -1, 0
	s_cmp_lg_u32 s0, 0
	s_cselect_b32 s9, -1, 0
	s_delay_alu instid0(SALU_CYCLE_1) | instskip(NEXT) | instid1(SALU_CYCLE_1)
	s_and_b32 s8, s8, s9
	s_and_not1_b32 vcc_lo, exec_lo, s8
	s_cbranch_vccnz .LBB43_11
; %bb.14:                               ;   in Loop: Header=BB43_12 Depth=1
	s_mul_i32 s12, s1, s30
	s_delay_alu instid0(SALU_CYCLE_1)
	s_ashr_i32 s13, s12, 31
	s_cmp_gt_i32 s0, 0
	s_cselect_b32 s37, -1, 0
	s_sub_co_i32 s8, s2, s1
	s_and_saveexec_b32 s9, s34
	s_cbranch_execz .LBB43_18
; %bb.15:                               ;   in Loop: Header=BB43_12 Depth=1
	s_and_b32 s14, s37, exec_lo
	s_cselect_b32 s14, s1, s2
	s_mov_b32 s24, s2
	v_add3_u32 v6, s14, s0, v12
	v_add_nc_u32_e32 v4, s14, v12
	s_add_co_i32 s14, s8, -1
	s_and_b32 s15, s37, exec_lo
	s_cselect_b32 s14, 0, s14
	v_ashrrev_i32_e32 v7, 31, v6
	global_load_b128 v[0:3], v4, s[22:23] scale_offset
	v_ashrrev_i32_e32 v5, 31, v4
	s_ashr_i32 s15, s14, 31
	s_ashr_i32 s25, s2, 31
	;; [unrolled: 1-line block ×3, first 2 shown]
	s_mov_b32 s26, s1
	s_wait_xcnt 0x0
	v_lshlrev_b64_e32 v[4:5], 4, v[4:5]
	v_lshlrev_b64_e32 v[6:7], 4, v[6:7]
	s_lshl_b64 s[14:15], s[14:15], 3
	s_lshl_b64 s[16:17], s[12:13], 3
	;; [unrolled: 1-line block ×4, first 2 shown]
	s_ashr_i32 s19, s0, 31
	v_or_b32_e32 v4, 8, v4
	s_mov_b32 s18, s0
	s_add_nc_u64 s[16:17], s[14:15], s[16:17]
	s_sub_nc_u64 s[24:25], s[24:25], s[26:27]
	s_lshl_b64 s[14:15], s[18:19], 4
	s_add_nc_u64 s[16:17], s[10:11], s[16:17]
	s_lshl_b64 s[18:19], s[18:19], 3
	s_add_nc_u64 s[24:25], s[24:25], 40
	s_mov_b32 s38, s8
	s_mov_b64 s[26:27], s[22:23]
.LBB43_16:                              ;   Parent Loop BB43_12 Depth=1
                                        ; =>  This Inner Loop Header: Depth=2
	s_wait_xcnt 0x0
	v_add_nc_u64_e32 v[8:9], s[26:27], v[6:7]
	s_add_nc_u64 s[40:41], s[16:17], s[24:25]
	s_add_co_i32 s38, s38, -1
	s_clause 0x1
	global_load_b64 v[24:25], v14, s[16:17] offset:32
	global_load_b64 v[26:27], v14, s[40:41]
	global_load_b128 v[16:19], v[8:9], off
	s_cmp_eq_u32 s38, 0
	s_wait_xcnt 0x2
	s_add_nc_u64 s[16:17], s[16:17], s[18:19]
	s_wait_loadcnt 0x0
	s_wait_xcnt 0x0
	v_mul_f64_e32 v[8:9], v[16:17], v[26:27]
	v_mul_f64_e32 v[22:23], v[18:19], v[26:27]
	s_delay_alu instid0(VALU_DEP_2) | instskip(NEXT) | instid1(VALU_DEP_2)
	v_fma_f64 v[20:21], v[0:1], v[24:25], -v[8:9]
	v_fma_f64 v[22:23], v[2:3], v[24:25], -v[22:23]
	v_mul_f64_e32 v[0:1], v[0:1], v[26:27]
	v_mul_f64_e32 v[2:3], v[2:3], v[26:27]
	v_add_nc_u64_e32 v[8:9], s[26:27], v[4:5]
	s_add_nc_u64 s[26:27], s[26:27], s[14:15]
	global_store_b128 v[8:9], v[20:23], off offset:-8
	v_fmac_f64_e32 v[0:1], v[16:17], v[24:25]
	v_fmac_f64_e32 v[2:3], v[18:19], v[24:25]
	s_cbranch_scc0 .LBB43_16
; %bb.17:                               ;   in Loop: Header=BB43_12 Depth=1
	v_sub_nc_u64_e64 v[4:5], v[6:7], s[14:15]
	s_delay_alu instid0(VALU_DEP_1)
	v_add_nc_u64_e32 v[4:5], s[26:27], v[4:5]
	global_store_b128 v[4:5], v[0:3], off
.LBB43_18:                              ;   in Loop: Header=BB43_12 Depth=1
	s_wait_xcnt 0x0
	s_or_b32 exec_lo, exec_lo, s9
	s_lshl_b32 s9, s8, 1
	s_delay_alu instid0(SALU_CYCLE_1)
	s_add_co_i32 s9, s9, 2
	s_and_b32 s14, s33, exec_lo
	s_cselect_b32 s24, 0, s9
	s_and_saveexec_b32 s25, s35
	s_cbranch_execz .LBB43_22
; %bb.19:                               ;   in Loop: Header=BB43_12 Depth=1
	s_and_b32 s9, s37, exec_lo
	s_cselect_b32 s9, s1, s2
	s_add_co_i32 s14, s8, -1
	s_mul_i32 s26, s9, s3
	s_and_b32 s15, s37, exec_lo
	v_dual_mov_b32 v5, v11 :: v_dual_add_nc_u32 v0, s26, v11
	s_cselect_b32 s14, 0, s14
	s_add_co_i32 s15, s0, s9
	s_add_co_i32 s14, s24, s14
	global_load_b128 v[0:3], v0, s[20:21] scale_offset
	s_ashr_i32 s9, s8, 31
	s_mul_i32 s27, s3, s15
	s_ashr_i32 s15, s14, 31
	s_lshl_b64 s[16:17], s[8:9], 3
	s_lshl_b64 s[18:19], s[12:13], 3
	;; [unrolled: 1-line block ×3, first 2 shown]
	s_add_nc_u64 s[14:15], s[16:17], 40
	s_add_nc_u64 s[16:17], s[18:19], s[40:41]
	s_ashr_i32 s19, s0, 31
	s_mov_b32 s18, s0
	s_mul_i32 s38, s3, s0
	s_add_nc_u64 s[16:17], s[10:11], s[16:17]
	s_lshl_b64 s[18:19], s[18:19], 3
	s_mov_b32 s9, s8
.LBB43_20:                              ;   Parent Loop BB43_12 Depth=1
                                        ; =>  This Inner Loop Header: Depth=2
	s_wait_xcnt 0x1
	v_add_nc_u32_e32 v4, s27, v5
	s_add_nc_u64 s[40:41], s[16:17], s[14:15]
	s_add_co_i32 s9, s9, -1
	s_clause 0x1
	global_load_b64 v[20:21], v14, s[16:17] offset:32
	global_load_b64 v[22:23], v14, s[40:41]
	global_load_b128 v[6:9], v4, s[20:21] scale_offset
	s_cmp_eq_u32 s9, 0
	s_wait_xcnt 0x2
	s_add_nc_u64 s[16:17], s[16:17], s[18:19]
	s_wait_loadcnt 0x0
	v_mul_f64_e32 v[16:17], v[6:7], v[22:23]
	v_mul_f64_e32 v[18:19], v[8:9], v[22:23]
	s_delay_alu instid0(VALU_DEP_2) | instskip(SKIP_1) | instid1(VALU_DEP_1)
	v_fma_f64 v[16:17], v[0:1], v[20:21], -v[16:17]
	v_mul_f64_e32 v[0:1], v[0:1], v[22:23]
	v_fmac_f64_e32 v[0:1], v[6:7], v[20:21]
	v_add_nc_u32_e32 v6, s26, v5
	v_fma_f64 v[18:19], v[2:3], v[20:21], -v[18:19]
	v_dual_mul_f64 v[2:3], v[2:3], v[22:23] :: v_dual_add_nc_u32 v5, s38, v5
	global_store_b128 v6, v[16:19], s[20:21] scale_offset
	v_fmac_f64_e32 v[2:3], v[8:9], v[20:21]
	s_cbranch_scc0 .LBB43_20
; %bb.21:                               ;   in Loop: Header=BB43_12 Depth=1
	v_ashrrev_i32_e32 v5, 31, v4
	s_wait_xcnt 0x1
	s_delay_alu instid0(VALU_DEP_1)
	v_lshl_add_u64 v[4:5], v[4:5], 4, s[20:21]
	global_store_b128 v[4:5], v[0:3], off
.LBB43_22:                              ;   in Loop: Header=BB43_12 Depth=1
	s_wait_xcnt 0x0
	s_or_b32 exec_lo, exec_lo, s25
	s_and_saveexec_b32 s25, s36
	s_cbranch_execz .LBB43_10
; %bb.23:                               ;   in Loop: Header=BB43_12 Depth=1
	s_lshl_b64 s[12:13], s[12:13], 3
	s_and_b32 s9, s37, exec_lo
	s_cselect_b32 s9, s1, s2
	s_mov_b32 s16, s0
	v_add3_u32 v4, s9, s0, v13
	v_add_nc_u32_e32 v6, s9, v13
	s_add_co_i32 s9, s8, -1
	s_and_b32 s14, s37, exec_lo
	s_cselect_b32 s9, 0, s9
	v_ashrrev_i32_e32 v5, 31, v4
	global_load_b128 v[0:3], v6, s[4:5] scale_offset
	s_add_co_i32 s14, s24, s9
	s_ashr_i32 s9, s8, 31
	s_ashr_i32 s17, s0, 31
	v_lshlrev_b64_e32 v[4:5], 4, v[4:5]
	v_ashrrev_i32_e32 v7, 31, v6
	s_add_nc_u64 s[12:13], s[10:11], s[12:13]
	s_mov_b32 s24, s0
	s_lshl_b64 s[16:17], s[16:17], 4
	s_lshl_b64 s[18:19], s[8:9], 3
	s_mov_b64 s[8:9], s[4:5]
	v_or_b32_e32 v8, 8, v4
	s_wait_xcnt 0x0
	v_lshlrev_b64_e32 v[6:7], 4, v[6:7]
	s_delay_alu instid0(VALU_DEP_1)
	v_dual_mov_b32 v9, v5 :: v_dual_bitop2_b32 v6, 8, v6 bitop3:0x54
.LBB43_24:                              ;   Parent Loop BB43_12 Depth=1
                                        ; =>  This Inner Loop Header: Depth=2
	s_wait_xcnt 0x0
	s_delay_alu instid0(VALU_DEP_1) | instskip(SKIP_3) | instid1(SALU_CYCLE_1)
	v_add_nc_u64_e32 v[20:21], s[8:9], v[8:9]
	s_ashr_i32 s15, s14, 31
	s_add_co_i32 s1, s1, 1
	s_lshl_b64 s[26:27], s[14:15], 3
	s_add_nc_u64 s[26:27], s[12:13], s[26:27]
	s_delay_alu instid0(SALU_CYCLE_1)
	s_add_nc_u64 s[26:27], s[26:27], s[18:19]
	global_load_b128 v[16:19], v[20:21], off offset:-8
	global_load_b64 v[24:25], v14, s[26:27] offset:40
	v_mov_b32_e32 v15, s14
	s_add_co_i32 s14, s14, s24
	s_cmp_eq_u32 s1, s2
	s_wait_loadcnt 0x0
	s_wait_xcnt 0x1
	v_mul_f64_e32 v[20:21], v[16:17], v[24:25]
	global_load_b64 v[26:27], v15, s[12:13] offset:32 scale_offset
	v_mul_f64_e32 v[22:23], v[18:19], v[24:25]
	s_wait_loadcnt 0x0
	v_fma_f64 v[20:21], v[0:1], v[26:27], -v[20:21]
	s_delay_alu instid0(VALU_DEP_2) | instskip(SKIP_2) | instid1(VALU_DEP_2)
	v_fma_f64 v[22:23], v[2:3], v[26:27], -v[22:23]
	v_mul_f64_e32 v[0:1], v[0:1], v[24:25]
	v_mul_f64_e32 v[2:3], v[2:3], v[24:25]
	v_fmac_f64_e32 v[0:1], v[16:17], v[26:27]
	s_delay_alu instid0(VALU_DEP_2)
	v_fmac_f64_e32 v[2:3], v[18:19], v[26:27]
	v_add_nc_u64_e32 v[16:17], s[8:9], v[6:7]
	s_add_nc_u64 s[8:9], s[8:9], s[16:17]
	global_store_b128 v[16:17], v[20:23], off offset:-8
	s_cbranch_scc0 .LBB43_24
	s_branch .LBB43_9
.LBB43_25:
	s_endpgm
	.section	.rodata,"a",@progbits
	.p2align	6, 0x0
	.amdhsa_kernel _ZN9rocsolver6v33100L12bdsqr_rotateI19rocblas_complex_numIdEdPS3_S4_S4_EEviiiiT1_iilT2_iilT3_iiliPiPT0_ilS8_
		.amdhsa_group_segment_fixed_size 0
		.amdhsa_private_segment_fixed_size 0
		.amdhsa_kernarg_size 392
		.amdhsa_user_sgpr_count 2
		.amdhsa_user_sgpr_dispatch_ptr 0
		.amdhsa_user_sgpr_queue_ptr 0
		.amdhsa_user_sgpr_kernarg_segment_ptr 1
		.amdhsa_user_sgpr_dispatch_id 0
		.amdhsa_user_sgpr_kernarg_preload_length 0
		.amdhsa_user_sgpr_kernarg_preload_offset 0
		.amdhsa_user_sgpr_private_segment_size 0
		.amdhsa_wavefront_size32 1
		.amdhsa_uses_dynamic_stack 0
		.amdhsa_enable_private_segment 0
		.amdhsa_system_sgpr_workgroup_id_x 1
		.amdhsa_system_sgpr_workgroup_id_y 1
		.amdhsa_system_sgpr_workgroup_id_z 1
		.amdhsa_system_sgpr_workgroup_info 0
		.amdhsa_system_vgpr_workitem_id 0
		.amdhsa_next_free_vgpr 28
		.amdhsa_next_free_sgpr 42
		.amdhsa_named_barrier_count 0
		.amdhsa_reserve_vcc 1
		.amdhsa_float_round_mode_32 0
		.amdhsa_float_round_mode_16_64 0
		.amdhsa_float_denorm_mode_32 3
		.amdhsa_float_denorm_mode_16_64 3
		.amdhsa_fp16_overflow 0
		.amdhsa_memory_ordered 1
		.amdhsa_forward_progress 1
		.amdhsa_inst_pref_size 14
		.amdhsa_round_robin_scheduling 0
		.amdhsa_exception_fp_ieee_invalid_op 0
		.amdhsa_exception_fp_denorm_src 0
		.amdhsa_exception_fp_ieee_div_zero 0
		.amdhsa_exception_fp_ieee_overflow 0
		.amdhsa_exception_fp_ieee_underflow 0
		.amdhsa_exception_fp_ieee_inexact 0
		.amdhsa_exception_int_div_zero 0
	.end_amdhsa_kernel
	.section	.text._ZN9rocsolver6v33100L12bdsqr_rotateI19rocblas_complex_numIdEdPS3_S4_S4_EEviiiiT1_iilT2_iilT3_iiliPiPT0_ilS8_,"axG",@progbits,_ZN9rocsolver6v33100L12bdsqr_rotateI19rocblas_complex_numIdEdPS3_S4_S4_EEviiiiT1_iilT2_iilT3_iiliPiPT0_ilS8_,comdat
.Lfunc_end43:
	.size	_ZN9rocsolver6v33100L12bdsqr_rotateI19rocblas_complex_numIdEdPS3_S4_S4_EEviiiiT1_iilT2_iilT3_iiliPiPT0_ilS8_, .Lfunc_end43-_ZN9rocsolver6v33100L12bdsqr_rotateI19rocblas_complex_numIdEdPS3_S4_S4_EEviiiiT1_iilT2_iilT3_iiliPiPT0_ilS8_
                                        ; -- End function
	.set _ZN9rocsolver6v33100L12bdsqr_rotateI19rocblas_complex_numIdEdPS3_S4_S4_EEviiiiT1_iilT2_iilT3_iiliPiPT0_ilS8_.num_vgpr, 28
	.set _ZN9rocsolver6v33100L12bdsqr_rotateI19rocblas_complex_numIdEdPS3_S4_S4_EEviiiiT1_iilT2_iilT3_iiliPiPT0_ilS8_.num_agpr, 0
	.set _ZN9rocsolver6v33100L12bdsqr_rotateI19rocblas_complex_numIdEdPS3_S4_S4_EEviiiiT1_iilT2_iilT3_iiliPiPT0_ilS8_.numbered_sgpr, 42
	.set _ZN9rocsolver6v33100L12bdsqr_rotateI19rocblas_complex_numIdEdPS3_S4_S4_EEviiiiT1_iilT2_iilT3_iiliPiPT0_ilS8_.num_named_barrier, 0
	.set _ZN9rocsolver6v33100L12bdsqr_rotateI19rocblas_complex_numIdEdPS3_S4_S4_EEviiiiT1_iilT2_iilT3_iiliPiPT0_ilS8_.private_seg_size, 0
	.set _ZN9rocsolver6v33100L12bdsqr_rotateI19rocblas_complex_numIdEdPS3_S4_S4_EEviiiiT1_iilT2_iilT3_iiliPiPT0_ilS8_.uses_vcc, 1
	.set _ZN9rocsolver6v33100L12bdsqr_rotateI19rocblas_complex_numIdEdPS3_S4_S4_EEviiiiT1_iilT2_iilT3_iiliPiPT0_ilS8_.uses_flat_scratch, 0
	.set _ZN9rocsolver6v33100L12bdsqr_rotateI19rocblas_complex_numIdEdPS3_S4_S4_EEviiiiT1_iilT2_iilT3_iiliPiPT0_ilS8_.has_dyn_sized_stack, 0
	.set _ZN9rocsolver6v33100L12bdsqr_rotateI19rocblas_complex_numIdEdPS3_S4_S4_EEviiiiT1_iilT2_iilT3_iiliPiPT0_ilS8_.has_recursion, 0
	.set _ZN9rocsolver6v33100L12bdsqr_rotateI19rocblas_complex_numIdEdPS3_S4_S4_EEviiiiT1_iilT2_iilT3_iiliPiPT0_ilS8_.has_indirect_call, 0
	.section	.AMDGPU.csdata,"",@progbits
; Kernel info:
; codeLenInByte = 1728
; TotalNumSgprs: 44
; NumVgprs: 28
; ScratchSize: 0
; MemoryBound: 0
; FloatMode: 240
; IeeeMode: 1
; LDSByteSize: 0 bytes/workgroup (compile time only)
; SGPRBlocks: 0
; VGPRBlocks: 1
; NumSGPRsForWavesPerEU: 44
; NumVGPRsForWavesPerEU: 28
; NamedBarCnt: 0
; Occupancy: 16
; WaveLimiterHint : 1
; COMPUTE_PGM_RSRC2:SCRATCH_EN: 0
; COMPUTE_PGM_RSRC2:USER_SGPR: 2
; COMPUTE_PGM_RSRC2:TRAP_HANDLER: 0
; COMPUTE_PGM_RSRC2:TGID_X_EN: 1
; COMPUTE_PGM_RSRC2:TGID_Y_EN: 1
; COMPUTE_PGM_RSRC2:TGID_Z_EN: 1
; COMPUTE_PGM_RSRC2:TIDIG_COMP_CNT: 0
	.section	.text._ZN9rocsolver6v33100L22bdsqr_update_endpointsI19rocblas_complex_numIdEdEEviPT0_lPiS5_lS6_,"axG",@progbits,_ZN9rocsolver6v33100L22bdsqr_update_endpointsI19rocblas_complex_numIdEdEEviPT0_lPiS5_lS6_,comdat
	.globl	_ZN9rocsolver6v33100L22bdsqr_update_endpointsI19rocblas_complex_numIdEdEEviPT0_lPiS5_lS6_ ; -- Begin function _ZN9rocsolver6v33100L22bdsqr_update_endpointsI19rocblas_complex_numIdEdEEviPT0_lPiS5_lS6_
	.p2align	8
	.type	_ZN9rocsolver6v33100L22bdsqr_update_endpointsI19rocblas_complex_numIdEdEEviPT0_lPiS5_lS6_,@function
_ZN9rocsolver6v33100L22bdsqr_update_endpointsI19rocblas_complex_numIdEdEEviPT0_lPiS5_lS6_: ; @_ZN9rocsolver6v33100L22bdsqr_update_endpointsI19rocblas_complex_numIdEdEEviPT0_lPiS5_lS6_
; %bb.0:
	s_load_b128 s[12:15], s[0:1], 0x28
	s_bfe_u32 s2, ttmp6, 0x40014
	s_lshr_b32 s3, ttmp7, 16
	s_add_co_i32 s2, s2, 1
	s_bfe_u32 s5, ttmp6, 0x40008
	s_mul_i32 s4, s3, s2
	s_getreg_b32 s2, hwreg(HW_REG_IB_STS2, 6, 4)
	s_add_co_i32 s5, s5, s4
	s_cmp_eq_u32 s2, 0
	s_mov_b32 s17, 0
	s_cselect_b32 s16, s3, s5
	s_wait_kmcnt 0x0
	s_load_b32 s3, s[14:15], s16 offset:0x8 scale_offset
	s_wait_kmcnt 0x0
	s_cmp_lg_u32 s3, 0
	s_cbranch_scc1 .LBB44_28
; %bb.1:
	s_load_b256 s[4:11], s[0:1], 0x8
	s_bfe_u32 s3, ttmp6, 0x40010
	s_and_b32 s14, ttmp7, 0xffff
	s_add_co_i32 s3, s3, 1
	s_bfe_u32 s15, ttmp6, 0x40004
	s_mul_i32 s3, s14, s3
	s_delay_alu instid0(SALU_CYCLE_1)
	s_add_co_i32 s15, s15, s3
	s_cmp_eq_u32 s2, 0
	s_mul_u64 s[2:3], s[12:13], s[16:17]
	s_cselect_b32 s20, s14, s15
	s_lshl_b64 s[2:3], s[2:3], 3
	s_wait_kmcnt 0x0
	s_add_nc_u64 s[2:3], s[10:11], s[2:3]
	s_load_b128 s[12:15], s[2:3], 0x8
	s_wait_kmcnt 0x0
	v_cvt_i32_f64_e32 v8, s[14:15]
	s_delay_alu instid0(VALU_DEP_1)
	v_cmp_ge_i32_e32 vcc_lo, s20, v8
	s_cbranch_vccnz .LBB44_28
; %bb.2:
	v_cvt_f64_i32_e32 v[4:5], v8
	s_clause 0x1
	s_load_b32 s10, s[0:1], 0x0
	s_load_b32 s21, s[0:1], 0x3c
	s_wait_xcnt 0x0
	s_mul_u64 s[0:1], s[6:7], s[16:17]
	v_mov_b64_e32 v[6:7], 0
	s_lshl_b64 s[0:1], s[0:1], 3
	v_mov_b32_e32 v9, 0
	s_add_nc_u64 s[4:5], s[4:5], s[0:1]
	s_wait_kmcnt 0x0
	s_mul_i32 s10, s16, s10
	s_delay_alu instid0(SALU_CYCLE_1) | instskip(NEXT) | instid1(SALU_CYCLE_1)
	s_lshl_b32 s6, s10, 1
	s_ashr_i32 s7, s6, 31
	s_delay_alu instid0(SALU_CYCLE_1) | instskip(NEXT) | instid1(SALU_CYCLE_1)
	s_lshl_b64 s[6:7], s[6:7], 2
	s_add_nc_u64 s[6:7], s[8:9], s[6:7]
	s_add_nc_u64 s[8:9], s[4:5], -8
	s_branch .LBB44_4
.LBB44_3:                               ;   in Loop: Header=BB44_4 Depth=1
	s_add_co_i32 s20, s21, s20
	s_wait_xcnt 0x0
	v_dual_mov_b32 v0, s22 :: v_dual_mov_b32 v1, s15
	v_cmp_lt_i32_e32 vcc_lo, s20, v8
	global_store_b64 v9, v[0:1], s[10:11] offset:4
	s_cbranch_vccz .LBB44_28
.LBB44_4:                               ; =>This Loop Header: Depth=1
                                        ;     Child Loop BB44_9 Depth 2
                                        ;     Child Loop BB44_14 Depth 2
	;; [unrolled: 1-line block ×3, first 2 shown]
	s_lshl_b32 s0, s20, 2
	s_delay_alu instid0(SALU_CYCLE_1) | instskip(NEXT) | instid1(SALU_CYCLE_1)
	s_ashr_i32 s1, s0, 31
	s_lshl_b64 s[0:1], s[0:1], 2
	s_wait_xcnt 0x0
	s_add_nc_u64 s[10:11], s[6:7], s[0:1]
	global_load_b128 v[0:3], v9, s[10:11]
	s_wait_loadcnt 0x0
	v_cmp_eq_u32_e64 s0, 0, v0
	v_readfirstlane_b32 s16, v1
	v_readfirstlane_b32 s14, v2
	v_mov_b32_e32 v2, v3
	s_and_b32 vcc_lo, exec_lo, s0
	s_cbranch_vccnz .LBB44_6
; %bb.5:                                ;   in Loop: Header=BB44_4 Depth=1
	s_sub_co_i32 s1, s14, s16
	s_delay_alu instid0(SALU_CYCLE_1)
	v_add_nc_u32_e32 v2, s1, v3
	global_store_b32 v9, v2, s[10:11] offset:12
.LBB44_6:                               ;   in Loop: Header=BB44_4 Depth=1
	s_cmp_le_i32 s14, s16
	s_cbranch_scc1 .LBB44_16
; %bb.7:                                ;   in Loop: Header=BB44_4 Depth=1
	s_ashr_i32 s17, s16, 31
	s_delay_alu instid0(SALU_CYCLE_1) | instskip(NEXT) | instid1(SALU_CYCLE_1)
	s_lshl_b64 s[18:19], s[16:17], 3
	s_add_nc_u64 s[18:19], s[4:5], s[18:19]
	s_branch .LBB44_9
.LBB44_8:                               ;   in Loop: Header=BB44_9 Depth=2
	s_add_co_i32 s16, s16, 1
	global_store_b64 v9, v[6:7], s[18:19]
	s_cmp_ge_i32 s16, s14
	s_wait_xcnt 0x0
	s_add_nc_u64 s[18:19], s[18:19], 8
	s_cselect_b32 s1, -1, 0
	s_mov_b32 s22, s14
	s_and_not1_b32 vcc_lo, exec_lo, s1
	s_cbranch_vccz .LBB44_11
.LBB44_9:                               ;   Parent Loop BB44_4 Depth=1
                                        ; =>  This Inner Loop Header: Depth=2
	global_load_b64 v[0:1], v9, s[18:19]
	s_wait_loadcnt 0x0
	v_cmp_nlt_f64_e64 s1, |v[0:1]|, s[12:13]
	s_and_b32 vcc_lo, exec_lo, s1
	s_mov_b32 s1, -1
	s_cbranch_vccz .LBB44_8
; %bb.10:                               ;   in Loop: Header=BB44_9 Depth=2
	s_mov_b32 s22, s16
                                        ; implicit-def: $sgpr16
                                        ; implicit-def: $sgpr18_sgpr19
	s_and_not1_b32 vcc_lo, exec_lo, s1
	s_cbranch_vccnz .LBB44_9
.LBB44_11:                              ;   in Loop: Header=BB44_4 Depth=1
	s_cmp_le_i32 s14, s22
	s_cbranch_scc1 .LBB44_17
.LBB44_12:                              ;   in Loop: Header=BB44_4 Depth=1
	s_ashr_i32 s15, s14, 31
	s_delay_alu instid0(SALU_CYCLE_1) | instskip(NEXT) | instid1(SALU_CYCLE_1)
	s_lshl_b64 s[16:17], s[14:15], 3
	s_add_nc_u64 s[16:17], s[8:9], s[16:17]
	s_branch .LBB44_14
.LBB44_13:                              ;   in Loop: Header=BB44_14 Depth=2
	s_add_co_i32 s14, s14, -1
	global_store_b64 v9, v[6:7], s[16:17]
	s_cmp_le_i32 s14, s22
	s_wait_xcnt 0x0
	s_add_nc_u64 s[16:17], s[16:17], -8
	s_cselect_b32 s1, -1, 0
	s_mov_b32 s15, s22
	s_and_not1_b32 vcc_lo, exec_lo, s1
	s_cbranch_vccz .LBB44_18
.LBB44_14:                              ;   Parent Loop BB44_4 Depth=1
                                        ; =>  This Inner Loop Header: Depth=2
	global_load_b64 v[0:1], v9, s[16:17]
	s_wait_loadcnt 0x0
	v_cmp_nlt_f64_e64 s1, |v[0:1]|, s[12:13]
	s_and_b32 vcc_lo, exec_lo, s1
	s_mov_b32 s1, -1
	s_cbranch_vccz .LBB44_13
; %bb.15:                               ;   in Loop: Header=BB44_14 Depth=2
	s_mov_b32 s15, s14
                                        ; implicit-def: $sgpr14
                                        ; implicit-def: $sgpr16_sgpr17
	s_and_not1_b32 vcc_lo, exec_lo, s1
	s_cbranch_vccnz .LBB44_14
	s_branch .LBB44_18
.LBB44_16:                              ;   in Loop: Header=BB44_4 Depth=1
	s_mov_b32 s22, s16
	s_delay_alu instid0(SALU_CYCLE_1)
	s_cmp_le_i32 s14, s22
	s_cbranch_scc0 .LBB44_12
.LBB44_17:                              ;   in Loop: Header=BB44_4 Depth=1
	s_mov_b32 s15, s14
.LBB44_18:                              ;   in Loop: Header=BB44_4 Depth=1
	s_delay_alu instid0(SALU_CYCLE_1) | instskip(SKIP_1) | instid1(SALU_CYCLE_1)
	s_cmp_lt_i32 s22, s15
	s_cselect_b32 s1, -1, 0
	s_and_b32 s0, s0, s1
	s_delay_alu instid0(SALU_CYCLE_1)
	s_and_not1_b32 vcc_lo, exec_lo, s0
	s_mov_b32 s0, s22
	s_cbranch_vccz .LBB44_20
	s_branch .LBB44_3
.LBB44_19:                              ;   in Loop: Header=BB44_20 Depth=2
	s_mov_b32 s0, s1
	s_delay_alu instid0(SALU_CYCLE_1)
	s_cmp_lt_i32 s0, s15
	s_cbranch_scc0 .LBB44_3
.LBB44_20:                              ;   Parent Loop BB44_4 Depth=1
                                        ; =>  This Inner Loop Header: Depth=2
	s_wait_xcnt 0x0
	v_mov_b32_e32 v0, s0
	s_mov_b32 s14, -1
	global_load_b64 v[0:1], v0, s[4:5] scale_offset
	s_wait_loadcnt 0x0
	v_cmp_lt_f64_e64 s1, |v[0:1]|, s[12:13]
	s_and_b32 vcc_lo, exec_lo, s1
                                        ; implicit-def: $sgpr1
	s_cbranch_vccnz .LBB44_22
; %bb.21:                               ;   in Loop: Header=BB44_20 Depth=2
	s_add_co_i32 s1, s0, 1
	s_mov_b32 s14, 0
.LBB44_22:                              ;   in Loop: Header=BB44_20 Depth=2
	s_delay_alu instid0(SALU_CYCLE_1)
	s_and_not1_b32 vcc_lo, exec_lo, s14
	s_cbranch_vccnz .LBB44_19
; %bb.23:                               ;   in Loop: Header=BB44_20 Depth=2
	s_ashr_i32 s1, s0, 31
	s_wait_xcnt 0x1
	s_lshl_b64 s[16:17], s[0:1], 3
	s_cmp_ge_i32 s22, s0
	s_add_nc_u64 s[16:17], s[4:5], s[16:17]
	global_store_b64 v9, v[6:7], s[16:17]
	s_cbranch_scc1 .LBB44_27
; %bb.24:                               ;   in Loop: Header=BB44_20 Depth=2
	s_mov_b32 s14, exec_lo
                                        ; implicit-def: $vgpr0_vgpr1
	s_delay_alu instid0(SALU_CYCLE_1) | instskip(NEXT) | instid1(VALU_DEP_1)
	v_mbcnt_lo_u32_b32 v3, s14, 0
	v_cmp_eq_u32_e32 vcc_lo, 0, v3
	s_wait_xcnt 0x0
	s_and_saveexec_b32 s1, vcc_lo
	s_cbranch_execz .LBB44_26
; %bb.25:                               ;   in Loop: Header=BB44_20 Depth=2
	s_bcnt1_i32_b32 s14, s14
	s_delay_alu instid0(SALU_CYCLE_1)
	v_cvt_f64_u32_e32 v[0:1], s14
	global_atomic_add_f64 v[0:1], v9, v[0:1], s[2:3] offset:24 th:TH_ATOMIC_RETURN scope:SCOPE_DEV
.LBB44_26:                              ;   in Loop: Header=BB44_20 Depth=2
	s_wait_xcnt 0x0
	s_or_b32 exec_lo, exec_lo, s1
	v_cvt_f64_u32_e32 v[10:11], v3
	s_wait_loadcnt 0x0
	v_readfirstlane_b32 s17, v1
	v_readfirstlane_b32 s16, v0
	s_delay_alu instid0(VALU_DEP_1) | instskip(NEXT) | instid1(VALU_DEP_1)
	v_add_f64_e32 v[0:1], s[16:17], v[10:11]
	v_cndmask_b32_e64 v1, v1, s17, vcc_lo
	s_delay_alu instid0(VALU_DEP_2) | instskip(NEXT) | instid1(VALU_DEP_1)
	v_cndmask_b32_e64 v0, v0, s16, vcc_lo
	v_add_f64_e32 v[0:1], v[0:1], v[4:5]
	s_delay_alu instid0(VALU_DEP_1) | instskip(NEXT) | instid1(VALU_DEP_1)
	v_cvt_i32_f64_e32 v0, v[0:1]
	v_dual_mov_b32 v1, s0 :: v_dual_lshlrev_b32 v10, 2, v0
	s_delay_alu instid0(VALU_DEP_1) | instskip(NEXT) | instid1(VALU_DEP_1)
	v_dual_mov_b32 v0, s22 :: v_dual_ashrrev_i32 v11, 31, v10
	v_lshl_add_u64 v[10:11], v[10:11], 2, s[6:7]
	global_store_b96 v[10:11], v[0:2], off offset:4
.LBB44_27:                              ;   in Loop: Header=BB44_20 Depth=2
	s_add_co_i32 s0, s0, 1
	s_delay_alu instid0(SALU_CYCLE_1)
	s_mov_b32 s22, s0
	s_cmp_lt_i32 s0, s15
	s_cbranch_scc1 .LBB44_20
	s_branch .LBB44_3
.LBB44_28:
	s_endpgm
	.section	.rodata,"a",@progbits
	.p2align	6, 0x0
	.amdhsa_kernel _ZN9rocsolver6v33100L22bdsqr_update_endpointsI19rocblas_complex_numIdEdEEviPT0_lPiS5_lS6_
		.amdhsa_group_segment_fixed_size 0
		.amdhsa_private_segment_fixed_size 0
		.amdhsa_kernarg_size 312
		.amdhsa_user_sgpr_count 2
		.amdhsa_user_sgpr_dispatch_ptr 0
		.amdhsa_user_sgpr_queue_ptr 0
		.amdhsa_user_sgpr_kernarg_segment_ptr 1
		.amdhsa_user_sgpr_dispatch_id 0
		.amdhsa_user_sgpr_kernarg_preload_length 0
		.amdhsa_user_sgpr_kernarg_preload_offset 0
		.amdhsa_user_sgpr_private_segment_size 0
		.amdhsa_wavefront_size32 1
		.amdhsa_uses_dynamic_stack 0
		.amdhsa_enable_private_segment 0
		.amdhsa_system_sgpr_workgroup_id_x 1
		.amdhsa_system_sgpr_workgroup_id_y 1
		.amdhsa_system_sgpr_workgroup_id_z 1
		.amdhsa_system_sgpr_workgroup_info 0
		.amdhsa_system_vgpr_workitem_id 0
		.amdhsa_next_free_vgpr 12
		.amdhsa_next_free_sgpr 23
		.amdhsa_named_barrier_count 0
		.amdhsa_reserve_vcc 1
		.amdhsa_float_round_mode_32 0
		.amdhsa_float_round_mode_16_64 0
		.amdhsa_float_denorm_mode_32 3
		.amdhsa_float_denorm_mode_16_64 3
		.amdhsa_fp16_overflow 0
		.amdhsa_memory_ordered 1
		.amdhsa_forward_progress 1
		.amdhsa_inst_pref_size 8
		.amdhsa_round_robin_scheduling 0
		.amdhsa_exception_fp_ieee_invalid_op 0
		.amdhsa_exception_fp_denorm_src 0
		.amdhsa_exception_fp_ieee_div_zero 0
		.amdhsa_exception_fp_ieee_overflow 0
		.amdhsa_exception_fp_ieee_underflow 0
		.amdhsa_exception_fp_ieee_inexact 0
		.amdhsa_exception_int_div_zero 0
	.end_amdhsa_kernel
	.section	.text._ZN9rocsolver6v33100L22bdsqr_update_endpointsI19rocblas_complex_numIdEdEEviPT0_lPiS5_lS6_,"axG",@progbits,_ZN9rocsolver6v33100L22bdsqr_update_endpointsI19rocblas_complex_numIdEdEEviPT0_lPiS5_lS6_,comdat
.Lfunc_end44:
	.size	_ZN9rocsolver6v33100L22bdsqr_update_endpointsI19rocblas_complex_numIdEdEEviPT0_lPiS5_lS6_, .Lfunc_end44-_ZN9rocsolver6v33100L22bdsqr_update_endpointsI19rocblas_complex_numIdEdEEviPT0_lPiS5_lS6_
                                        ; -- End function
	.set _ZN9rocsolver6v33100L22bdsqr_update_endpointsI19rocblas_complex_numIdEdEEviPT0_lPiS5_lS6_.num_vgpr, 12
	.set _ZN9rocsolver6v33100L22bdsqr_update_endpointsI19rocblas_complex_numIdEdEEviPT0_lPiS5_lS6_.num_agpr, 0
	.set _ZN9rocsolver6v33100L22bdsqr_update_endpointsI19rocblas_complex_numIdEdEEviPT0_lPiS5_lS6_.numbered_sgpr, 23
	.set _ZN9rocsolver6v33100L22bdsqr_update_endpointsI19rocblas_complex_numIdEdEEviPT0_lPiS5_lS6_.num_named_barrier, 0
	.set _ZN9rocsolver6v33100L22bdsqr_update_endpointsI19rocblas_complex_numIdEdEEviPT0_lPiS5_lS6_.private_seg_size, 0
	.set _ZN9rocsolver6v33100L22bdsqr_update_endpointsI19rocblas_complex_numIdEdEEviPT0_lPiS5_lS6_.uses_vcc, 1
	.set _ZN9rocsolver6v33100L22bdsqr_update_endpointsI19rocblas_complex_numIdEdEEviPT0_lPiS5_lS6_.uses_flat_scratch, 0
	.set _ZN9rocsolver6v33100L22bdsqr_update_endpointsI19rocblas_complex_numIdEdEEviPT0_lPiS5_lS6_.has_dyn_sized_stack, 0
	.set _ZN9rocsolver6v33100L22bdsqr_update_endpointsI19rocblas_complex_numIdEdEEviPT0_lPiS5_lS6_.has_recursion, 0
	.set _ZN9rocsolver6v33100L22bdsqr_update_endpointsI19rocblas_complex_numIdEdEEviPT0_lPiS5_lS6_.has_indirect_call, 0
	.section	.AMDGPU.csdata,"",@progbits
; Kernel info:
; codeLenInByte = 1000
; TotalNumSgprs: 25
; NumVgprs: 12
; ScratchSize: 0
; MemoryBound: 0
; FloatMode: 240
; IeeeMode: 1
; LDSByteSize: 0 bytes/workgroup (compile time only)
; SGPRBlocks: 0
; VGPRBlocks: 0
; NumSGPRsForWavesPerEU: 25
; NumVGPRsForWavesPerEU: 12
; NamedBarCnt: 0
; Occupancy: 16
; WaveLimiterHint : 1
; COMPUTE_PGM_RSRC2:SCRATCH_EN: 0
; COMPUTE_PGM_RSRC2:USER_SGPR: 2
; COMPUTE_PGM_RSRC2:TRAP_HANDLER: 0
; COMPUTE_PGM_RSRC2:TGID_X_EN: 1
; COMPUTE_PGM_RSRC2:TGID_Y_EN: 1
; COMPUTE_PGM_RSRC2:TGID_Z_EN: 1
; COMPUTE_PGM_RSRC2:TIDIG_COMP_CNT: 0
	.section	.text._ZN9rocsolver6v33100L19bdsqr_chk_completedI19rocblas_complex_numIdEdEEviiPiPT0_lS4_,"axG",@progbits,_ZN9rocsolver6v33100L19bdsqr_chk_completedI19rocblas_complex_numIdEdEEviiPiPT0_lS4_,comdat
	.globl	_ZN9rocsolver6v33100L19bdsqr_chk_completedI19rocblas_complex_numIdEdEEviiPiPT0_lS4_ ; -- Begin function _ZN9rocsolver6v33100L19bdsqr_chk_completedI19rocblas_complex_numIdEdEEviiPiPT0_lS4_
	.p2align	8
	.type	_ZN9rocsolver6v33100L19bdsqr_chk_completedI19rocblas_complex_numIdEdEEviiPiPT0_lS4_,@function
_ZN9rocsolver6v33100L19bdsqr_chk_completedI19rocblas_complex_numIdEdEEviiPiPT0_lS4_: ; @_ZN9rocsolver6v33100L19bdsqr_chk_completedI19rocblas_complex_numIdEdEEviiPiPT0_lS4_
; %bb.0:
	s_load_b256 s[4:11], s[0:1], 0x8
	s_bfe_u32 s2, ttmp6, 0x40010
	s_bfe_u32 s3, ttmp6, 0x40004
	s_add_co_i32 s2, s2, 1
	s_getreg_b32 s12, hwreg(HW_REG_IB_STS2, 6, 4)
	s_mul_i32 s2, ttmp7, s2
	s_delay_alu instid0(SALU_CYCLE_1) | instskip(SKIP_2) | instid1(SALU_CYCLE_1)
	s_add_co_i32 s3, s3, s2
	s_cmp_eq_u32 s12, 0
	s_cselect_b32 s12, ttmp7, s3
	s_ashr_i32 s13, s12, 31
	s_delay_alu instid0(SALU_CYCLE_1)
	s_lshl_b64 s[2:3], s[12:13], 2
	s_wait_kmcnt 0x0
	s_add_nc_u64 s[2:3], s[10:11], s[2:3]
	s_load_b32 s14, s[2:3], 0x8
	s_wait_kmcnt 0x0
	s_cmp_lg_u32 s14, 0
	s_cbranch_scc0 .LBB45_2
.LBB45_1:
	s_endpgm
.LBB45_2:
	s_mul_u64 s[8:9], s[8:9], s[12:13]
	v_mov_b32_e32 v2, 0
	s_lshl_b64 s[8:9], s[8:9], 3
	s_delay_alu instid0(SALU_CYCLE_1)
	s_add_nc_u64 s[8:9], s[6:7], s[8:9]
	s_load_b32 s6, s[10:11], 0x4
	s_load_b128 s[16:19], s[8:9], 0x10
	v_mov_b32_e32 v3, v2
	s_wait_kmcnt 0x0
	v_add_f64_e64 v[0:1], s[16:17], s[18:19]
	s_delay_alu instid0(VALU_DEP_1) | instskip(NEXT) | instid1(VALU_DEP_1)
	v_cvt_i32_f64_e32 v4, v[0:1]
	v_cvt_f64_i32_e32 v[0:1], v4
	v_cmp_ge_i32_e32 vcc_lo, s6, v4
	global_store_b128 v2, v[0:3], s[8:9] offset:16
	s_cbranch_vccnz .LBB45_6
; %bb.3:
	v_mov_b32_e32 v5, s6
	s_mov_b32 s6, 0
.LBB45_4:                               ; =>This Inner Loop Header: Depth=1
	s_wait_xcnt 0x0
	global_atomic_cmpswap_b32 v5, v2, v[4:5], s[10:11] offset:4 th:TH_ATOMIC_RETURN scope:SCOPE_DEV
	s_wait_loadcnt 0x0
	v_cmp_ge_i32_e32 vcc_lo, v5, v4
	s_or_b32 s6, vcc_lo, s6
	s_wait_xcnt 0x0
	s_and_not1_b32 exec_lo, exec_lo, s6
	s_cbranch_execnz .LBB45_4
; %bb.5:
	s_or_b32 exec_lo, exec_lo, s6
.LBB45_6:
	v_cmp_gt_i32_e32 vcc_lo, 1, v4
	s_cbranch_vccnz .LBB45_14
; %bb.7:
	s_load_b64 s[0:1], s[0:1], 0x0
	v_mov_b32_e32 v0, 0
	s_wait_kmcnt 0x0
	s_mul_i32 s0, s12, s0
	s_delay_alu instid0(SALU_CYCLE_1) | instskip(NEXT) | instid1(SALU_CYCLE_1)
	s_lshl_b32 s6, s0, 1
	s_ashr_i32 s7, s6, 31
	s_delay_alu instid0(SALU_CYCLE_1) | instskip(NEXT) | instid1(SALU_CYCLE_1)
	s_lshl_b64 s[6:7], s[6:7], 2
	s_add_nc_u64 s[4:5], s[4:5], s[6:7]
	s_delay_alu instid0(SALU_CYCLE_1)
	s_add_nc_u64 s[4:5], s[4:5], 12
	s_branch .LBB45_9
.LBB45_8:                               ;   in Loop: Header=BB45_9 Depth=1
	v_add_nc_u32_e32 v4, -1, v4
	s_wait_xcnt 0x0
	s_add_nc_u64 s[4:5], s[4:5], 16
	s_mov_b32 s0, 0
	s_delay_alu instid0(VALU_DEP_1)
	v_cmp_eq_u32_e64 s6, 0, v4
	s_and_not1_b32 vcc_lo, exec_lo, s6
	s_cbranch_vccz .LBB45_13
.LBB45_9:                               ; =>This Inner Loop Header: Depth=1
	global_load_b64 v[2:3], v0, s[4:5] offset:-8
	s_mov_b32 s0, -1
	s_wait_loadcnt 0x0
	v_cmp_ge_i32_e32 vcc_lo, v2, v3
	s_cbranch_vccnz .LBB45_11
; %bb.10:                               ;   in Loop: Header=BB45_9 Depth=1
	global_load_b32 v1, v0, s[4:5]
	s_wait_loadcnt 0x0
	v_cmp_le_i32_e64 s0, s1, v1
.LBB45_11:                              ;   in Loop: Header=BB45_9 Depth=1
	s_delay_alu instid0(VALU_DEP_1)
	s_and_not1_b32 vcc_lo, exec_lo, s0
	s_cbranch_vccz .LBB45_8
; %bb.12:
	s_mov_b32 s0, -1
                                        ; implicit-def: $vgpr4
                                        ; implicit-def: $sgpr4_sgpr5
.LBB45_13:
	s_delay_alu instid0(SALU_CYCLE_1) | instskip(NEXT) | instid1(SALU_CYCLE_1)
	s_xor_b32 s0, s0, -1
	s_and_b32 vcc_lo, exec_lo, s0
	s_cbranch_vccz .LBB45_1
	s_branch .LBB45_15
.LBB45_14:
	s_cbranch_execz .LBB45_1
.LBB45_15:
	s_mov_b32 s0, exec_lo
	s_wait_xcnt 0x0
	v_dual_mov_b32 v0, 0 :: v_dual_mov_b32 v2, 1
	v_mbcnt_lo_u32_b32 v1, s0, 0
	s_mov_b32 s1, exec_lo
	global_store_b32 v0, v2, s[2:3] offset:8
	s_wait_xcnt 0x0
	v_cmpx_eq_u32_e32 0, v1
	s_cbranch_execz .LBB45_1
; %bb.16:
	s_bcnt1_i32_b32 s0, s0
	s_delay_alu instid0(SALU_CYCLE_1)
	v_mov_b32_e32 v1, s0
	global_atomic_add_u32 v0, v1, s[10:11] scope:SCOPE_DEV
	s_endpgm
	.section	.rodata,"a",@progbits
	.p2align	6, 0x0
	.amdhsa_kernel _ZN9rocsolver6v33100L19bdsqr_chk_completedI19rocblas_complex_numIdEdEEviiPiPT0_lS4_
		.amdhsa_group_segment_fixed_size 0
		.amdhsa_private_segment_fixed_size 0
		.amdhsa_kernarg_size 40
		.amdhsa_user_sgpr_count 2
		.amdhsa_user_sgpr_dispatch_ptr 0
		.amdhsa_user_sgpr_queue_ptr 0
		.amdhsa_user_sgpr_kernarg_segment_ptr 1
		.amdhsa_user_sgpr_dispatch_id 0
		.amdhsa_user_sgpr_kernarg_preload_length 0
		.amdhsa_user_sgpr_kernarg_preload_offset 0
		.amdhsa_user_sgpr_private_segment_size 0
		.amdhsa_wavefront_size32 1
		.amdhsa_uses_dynamic_stack 0
		.amdhsa_enable_private_segment 0
		.amdhsa_system_sgpr_workgroup_id_x 1
		.amdhsa_system_sgpr_workgroup_id_y 1
		.amdhsa_system_sgpr_workgroup_id_z 0
		.amdhsa_system_sgpr_workgroup_info 0
		.amdhsa_system_vgpr_workitem_id 0
		.amdhsa_next_free_vgpr 6
		.amdhsa_next_free_sgpr 20
		.amdhsa_named_barrier_count 0
		.amdhsa_reserve_vcc 1
		.amdhsa_float_round_mode_32 0
		.amdhsa_float_round_mode_16_64 0
		.amdhsa_float_denorm_mode_32 3
		.amdhsa_float_denorm_mode_16_64 3
		.amdhsa_fp16_overflow 0
		.amdhsa_memory_ordered 1
		.amdhsa_forward_progress 1
		.amdhsa_inst_pref_size 4
		.amdhsa_round_robin_scheduling 0
		.amdhsa_exception_fp_ieee_invalid_op 0
		.amdhsa_exception_fp_denorm_src 0
		.amdhsa_exception_fp_ieee_div_zero 0
		.amdhsa_exception_fp_ieee_overflow 0
		.amdhsa_exception_fp_ieee_underflow 0
		.amdhsa_exception_fp_ieee_inexact 0
		.amdhsa_exception_int_div_zero 0
	.end_amdhsa_kernel
	.section	.text._ZN9rocsolver6v33100L19bdsqr_chk_completedI19rocblas_complex_numIdEdEEviiPiPT0_lS4_,"axG",@progbits,_ZN9rocsolver6v33100L19bdsqr_chk_completedI19rocblas_complex_numIdEdEEviiPiPT0_lS4_,comdat
.Lfunc_end45:
	.size	_ZN9rocsolver6v33100L19bdsqr_chk_completedI19rocblas_complex_numIdEdEEviiPiPT0_lS4_, .Lfunc_end45-_ZN9rocsolver6v33100L19bdsqr_chk_completedI19rocblas_complex_numIdEdEEviiPiPT0_lS4_
                                        ; -- End function
	.set _ZN9rocsolver6v33100L19bdsqr_chk_completedI19rocblas_complex_numIdEdEEviiPiPT0_lS4_.num_vgpr, 6
	.set _ZN9rocsolver6v33100L19bdsqr_chk_completedI19rocblas_complex_numIdEdEEviiPiPT0_lS4_.num_agpr, 0
	.set _ZN9rocsolver6v33100L19bdsqr_chk_completedI19rocblas_complex_numIdEdEEviiPiPT0_lS4_.numbered_sgpr, 20
	.set _ZN9rocsolver6v33100L19bdsqr_chk_completedI19rocblas_complex_numIdEdEEviiPiPT0_lS4_.num_named_barrier, 0
	.set _ZN9rocsolver6v33100L19bdsqr_chk_completedI19rocblas_complex_numIdEdEEviiPiPT0_lS4_.private_seg_size, 0
	.set _ZN9rocsolver6v33100L19bdsqr_chk_completedI19rocblas_complex_numIdEdEEviiPiPT0_lS4_.uses_vcc, 1
	.set _ZN9rocsolver6v33100L19bdsqr_chk_completedI19rocblas_complex_numIdEdEEviiPiPT0_lS4_.uses_flat_scratch, 0
	.set _ZN9rocsolver6v33100L19bdsqr_chk_completedI19rocblas_complex_numIdEdEEviiPiPT0_lS4_.has_dyn_sized_stack, 0
	.set _ZN9rocsolver6v33100L19bdsqr_chk_completedI19rocblas_complex_numIdEdEEviiPiPT0_lS4_.has_recursion, 0
	.set _ZN9rocsolver6v33100L19bdsqr_chk_completedI19rocblas_complex_numIdEdEEviiPiPT0_lS4_.has_indirect_call, 0
	.section	.AMDGPU.csdata,"",@progbits
; Kernel info:
; codeLenInByte = 508
; TotalNumSgprs: 22
; NumVgprs: 6
; ScratchSize: 0
; MemoryBound: 0
; FloatMode: 240
; IeeeMode: 1
; LDSByteSize: 0 bytes/workgroup (compile time only)
; SGPRBlocks: 0
; VGPRBlocks: 0
; NumSGPRsForWavesPerEU: 22
; NumVGPRsForWavesPerEU: 6
; NamedBarCnt: 0
; Occupancy: 16
; WaveLimiterHint : 0
; COMPUTE_PGM_RSRC2:SCRATCH_EN: 0
; COMPUTE_PGM_RSRC2:USER_SGPR: 2
; COMPUTE_PGM_RSRC2:TRAP_HANDLER: 0
; COMPUTE_PGM_RSRC2:TGID_X_EN: 1
; COMPUTE_PGM_RSRC2:TGID_Y_EN: 1
; COMPUTE_PGM_RSRC2:TGID_Z_EN: 0
; COMPUTE_PGM_RSRC2:TIDIG_COMP_CNT: 0
	.section	.text._ZN9rocsolver6v33100L14bdsqr_finalizeI19rocblas_complex_numIdEdPS3_S4_S4_EEviiiiPT0_lS6_lT1_iilT2_iilT3_iilPiSA_SA_,"axG",@progbits,_ZN9rocsolver6v33100L14bdsqr_finalizeI19rocblas_complex_numIdEdPS3_S4_S4_EEviiiiPT0_lS6_lT1_iilT2_iilT3_iilPiSA_SA_,comdat
	.globl	_ZN9rocsolver6v33100L14bdsqr_finalizeI19rocblas_complex_numIdEdPS3_S4_S4_EEviiiiPT0_lS6_lT1_iilT2_iilT3_iilPiSA_SA_ ; -- Begin function _ZN9rocsolver6v33100L14bdsqr_finalizeI19rocblas_complex_numIdEdPS3_S4_S4_EEviiiiPT0_lS6_lT1_iilT2_iilT3_iilPiSA_SA_
	.p2align	8
	.type	_ZN9rocsolver6v33100L14bdsqr_finalizeI19rocblas_complex_numIdEdPS3_S4_S4_EEviiiiPT0_lS6_lT1_iilT2_iilT3_iilPiSA_SA_,@function
_ZN9rocsolver6v33100L14bdsqr_finalizeI19rocblas_complex_numIdEdPS3_S4_S4_EEviiiiPT0_lS6_lT1_iilT2_iilT3_iilPiSA_SA_: ; @_ZN9rocsolver6v33100L14bdsqr_finalizeI19rocblas_complex_numIdEdPS3_S4_S4_EEviiiiPT0_lS6_lT1_iilT2_iilT3_iilPiSA_SA_
; %bb.0:
	s_load_b256 s[36:43], s[2:3], 0x70
	s_bfe_u32 s4, ttmp6, 0x40010
	s_bfe_u32 s5, ttmp6, 0x40004
	s_add_co_i32 s4, s4, 1
	s_getreg_b32 s6, hwreg(HW_REG_IB_STS2, 6, 4)
	s_mul_i32 s4, ttmp7, s4
	s_mov_b32 s32, 0
	s_add_co_i32 s5, s5, s4
	s_cmp_eq_u32 s6, 0
	s_cselect_b32 s8, ttmp7, s5
	s_delay_alu instid0(SALU_CYCLE_1) | instskip(NEXT) | instid1(SALU_CYCLE_1)
	s_ashr_i32 s9, s8, 31
	s_lshl_b64 s[22:23], s[8:9], 2
	s_wait_kmcnt 0x0
	s_add_nc_u64 s[4:5], s[42:43], s[22:23]
	s_load_b32 s4, s[4:5], 0x8
	s_wait_kmcnt 0x0
	s_cmp_gt_i32 s4, 1
	s_cbranch_scc1 .LBB46_311
; %bb.1:
	s_clause 0x2
	s_load_b64 s[10:11], s[2:3], 0x9c
	s_load_b256 s[44:51], s[2:3], 0x30
	s_load_b256 s[52:59], s[2:3], 0x10
	s_mov_b64 s[28:29], 0
	s_mov_b64 s[34:35], 0
	s_wait_kmcnt 0x0
	s_and_b32 s11, s11, 0xffff
	s_cmp_eq_u64 s[44:45], 0
	s_cbranch_scc1 .LBB46_3
; %bb.2:
	s_mul_u64 s[4:5], s[48:49], s[8:9]
	s_ashr_i32 s7, s46, 31
	s_lshl_b64 s[4:5], s[4:5], 4
	s_mov_b32 s6, s46
	s_add_nc_u64 s[4:5], s[44:45], s[4:5]
	s_lshl_b64 s[6:7], s[6:7], 4
	s_delay_alu instid0(SALU_CYCLE_1)
	s_add_nc_u64 s[34:35], s[4:5], s[6:7]
.LBB46_3:
	s_clause 0x1
	s_load_b64 s[42:43], s[2:3], 0x50
	s_load_b128 s[4:7], s[2:3], 0x58
	s_cmp_eq_u64 s[50:51], 0
	s_cbranch_scc1 .LBB46_5
; %bb.4:
	s_wait_kmcnt 0x0
	s_mul_u64 s[4:5], s[4:5], s[8:9]
	s_ashr_i32 s13, s42, 31
	s_lshl_b64 s[4:5], s[4:5], 4
	s_mov_b32 s12, s42
	s_add_nc_u64 s[4:5], s[50:51], s[4:5]
	s_lshl_b64 s[12:13], s[12:13], 4
	s_delay_alu instid0(SALU_CYCLE_1)
	s_add_nc_u64 s[28:29], s[4:5], s[12:13]
.LBB46_5:
	s_load_b64 s[48:49], s[2:3], 0x68
	s_wait_kmcnt 0x0
	s_cmp_eq_u64 s[6:7], 0
	s_mov_b64 s[44:45], 0
	s_cbranch_scc1 .LBB46_7
; %bb.6:
	s_mul_u64 s[4:5], s[36:37], s[8:9]
	s_ashr_i32 s13, s48, 31
	s_lshl_b64 s[4:5], s[4:5], 4
	s_mov_b32 s12, s48
	s_add_nc_u64 s[4:5], s[6:7], s[4:5]
	s_lshl_b64 s[6:7], s[12:13], 4
	s_delay_alu instid0(SALU_CYCLE_1)
	s_add_nc_u64 s[44:45], s[4:5], s[6:7]
.LBB46_7:
	v_and_b32_e32 v43, 0x3ff, v0
	v_bfe_u32 v44, v0, 10, 10
	s_and_b32 s21, s10, 0xffff
	s_load_b128 s[24:27], s[2:3], 0x0
	v_bfe_u32 v45, v0, 20, 10
	s_lshr_b32 s4, s10, 16
	v_mad_u32_u24 v0, v44, s21, v43
	s_mul_i32 s46, s4, s21
	s_mul_u64 s[4:5], s[54:55], s[8:9]
	s_delay_alu instid0(SALU_CYCLE_1) | instskip(NEXT) | instid1(VALU_DEP_1)
	s_lshl_b64 s[50:51], s[4:5], 3
	v_mad_u32 v41, s46, v45, v0
	s_and_b32 s5, s11, 0xffff
	s_add_nc_u64 s[36:37], s[52:53], s[50:51]
	s_mul_i32 s46, s46, s5
	s_delay_alu instid0(VALU_DEP_1)
	v_cmp_eq_u32_e64 s4, 0, v41
	s_wait_kmcnt 0x0
	s_cmp_lt_i32 s24, 1
	s_cbranch_scc1 .LBB46_22
; %bb.8:
	s_mul_u64 s[6:7], s[58:59], s[8:9]
	s_add_co_i32 s9, s24, -1
	s_lshl_b64 s[6:7], s[6:7], 3
	v_cmp_gt_u32_e64 s5, s25, v41
	v_mov_b32_e32 v1, 0
	s_cmp_lg_u32 s25, 0
	s_mov_b32 s11, 0
	s_add_nc_u64 s[6:7], s[56:57], s[6:7]
	s_cselect_b32 s18, -1, 0
	s_ashr_i32 s13, s47, 31
	s_mov_b32 s12, s47
	s_mov_b32 s10, s11
	;; [unrolled: 1-line block ×3, first 2 shown]
	s_branch .LBB46_11
.LBB46_9:                               ;   in Loop: Header=BB46_11 Depth=1
	s_wait_xcnt 0x0
	s_or_b32 exec_lo, exec_lo, s16
.LBB46_10:                              ;   in Loop: Header=BB46_11 Depth=1
	s_add_co_i32 s10, s10, 1
	s_delay_alu instid0(SALU_CYCLE_1)
	s_cmp_eq_u32 s10, s24
	s_cbranch_scc1 .LBB46_23
.LBB46_11:                              ; =>This Loop Header: Depth=1
                                        ;     Child Loop BB46_18 Depth 2
	s_cmp_ge_i32 s10, s9
	s_cbranch_scc1 .LBB46_14
; %bb.12:                               ;   in Loop: Header=BB46_11 Depth=1
	s_wait_xcnt 0x0
	s_lshl_b64 s[14:15], s[10:11], 3
	s_delay_alu instid0(SALU_CYCLE_1)
	s_add_nc_u64 s[14:15], s[6:7], s[14:15]
	global_load_b64 v[2:3], v1, s[14:15]
	s_wait_loadcnt 0x0
	v_cmp_eq_f64_e32 vcc_lo, 0, v[2:3]
	s_cbranch_vccnz .LBB46_14
; %bb.13:                               ;   in Loop: Header=BB46_11 Depth=1
	s_add_co_i32 s42, s42, 1
.LBB46_14:                              ;   in Loop: Header=BB46_11 Depth=1
	s_wait_xcnt 0x0
	s_lshl_b64 s[14:15], s[10:11], 3
	s_delay_alu instid0(SALU_CYCLE_1)
	s_add_nc_u64 s[14:15], s[36:37], s[14:15]
	global_load_b64 v[2:3], v1, s[14:15]
	s_wait_loadcnt 0x0
	v_cmp_ngt_f64_e32 vcc_lo, 0, v[2:3]
	s_cbranch_vccnz .LBB46_10
; %bb.15:                               ;   in Loop: Header=BB46_11 Depth=1
	s_and_not1_b32 vcc_lo, exec_lo, s18
	s_cbranch_vccnz .LBB46_20
; %bb.16:                               ;   in Loop: Header=BB46_11 Depth=1
	s_wait_xcnt 0x0
	s_and_saveexec_b32 s19, s5
	s_cbranch_execz .LBB46_19
; %bb.17:                               ;   in Loop: Header=BB46_11 Depth=1
	v_mov_b32_e32 v0, v41
	s_lshl_b64 s[16:17], s[10:11], 4
	s_mov_b32 s20, 0
	s_add_nc_u64 s[16:17], s[34:35], s[16:17]
.LBB46_18:                              ;   Parent Loop BB46_11 Depth=1
                                        ; =>  This Inner Loop Header: Depth=2
	s_delay_alu instid0(VALU_DEP_1) | instskip(SKIP_1) | instid1(VALU_DEP_1)
	v_mul_u64_e32 v[2:3], s[12:13], v[0:1]
	v_add_nc_u32_e32 v0, s46, v0
	v_cmp_le_u32_e32 vcc_lo, s25, v0
	s_or_b32 s20, vcc_lo, s20
	s_delay_alu instid0(VALU_DEP_3)
	v_lshl_add_u64 v[6:7], v[2:3], 4, s[16:17]
	global_load_b128 v[2:5], v[6:7], off
	s_wait_loadcnt 0x0
	v_xor_b32_e32 v3, 0x80000000, v3
	v_xor_b32_e32 v5, 0x80000000, v5
	global_store_b128 v[6:7], v[2:5], off
	s_wait_xcnt 0x0
	s_and_not1_b32 exec_lo, exec_lo, s20
	s_cbranch_execnz .LBB46_18
.LBB46_19:                              ;   in Loop: Header=BB46_11 Depth=1
	s_or_b32 exec_lo, exec_lo, s19
	s_wait_storecnt 0x0
	s_barrier_signal -1
	s_barrier_wait -1
.LBB46_20:                              ;   in Loop: Header=BB46_11 Depth=1
	s_wait_xcnt 0x0
	s_and_saveexec_b32 s16, s4
	s_cbranch_execz .LBB46_9
; %bb.21:                               ;   in Loop: Header=BB46_11 Depth=1
	global_load_b64 v[2:3], v1, s[14:15]
	s_wait_loadcnt 0x0
	v_xor_b32_e32 v3, 0x80000000, v3
	global_store_b64 v1, v[2:3], s[14:15]
	s_branch .LBB46_9
.LBB46_22:
	s_mov_b32 s42, 0
.LBB46_23:
	s_delay_alu instid0(SALU_CYCLE_1)
	s_cmp_lt_i32 s42, 1
	s_mov_b32 s4, -1
	s_cbranch_scc0 .LBB46_308
; %bb.24:
	s_load_b64 s[4:5], s[0:1], 0x4
	s_wait_xcnt 0x0
	s_mul_i32 s0, s8, s24
	s_mov_b32 s54, 0
	s_lshl_b32 s0, s0, 1
	s_wait_storecnt 0x0
	s_ashr_i32 s1, s0, 31
	s_barrier_signal -1
	s_lshl_b64 s[0:1], s[0:1], 2
	s_cmp_lg_u64 s[40:41], 0
	s_add_nc_u64 s[0:1], s[40:41], s[0:1]
	s_barrier_wait -1
	s_cselect_b32 s41, s1, 0
	s_cselect_b32 s40, s0, 0
	s_wait_kmcnt 0x0
	s_lshr_b32 s0, s4, 16
	v_mul_u32_u24_e32 v1, s5, v44
	s_mul_i32 s0, s0, s5
	s_cmp_lg_u64 s[40:41], 0
	v_mul_lo_u32 v0, s0, v43
	s_delay_alu instid0(VALU_DEP_1)
	v_add3_u32 v42, v0, v1, v45
	s_cbranch_scc0 .LBB46_43
; %bb.25:
	s_or_b32 s0, s26, s25
	s_delay_alu instid0(SALU_CYCLE_1) | instskip(SKIP_4) | instid1(SALU_CYCLE_1)
	s_or_b32 s0, s0, s27
	s_cmp_gt_i32 s24, 0
	s_cselect_b32 s57, -1, 0
	s_cmp_lg_u64 s[52:53], 0
	s_cselect_b32 s1, -1, 0
	s_and_b32 s48, s57, s1
	s_cmp_eq_u32 s0, 0
	s_cbranch_scc1 .LBB46_44
; %bb.26:
	s_mov_b32 s58, -1
	s_mov_b32 s56, 0
	s_and_b32 vcc_lo, exec_lo, s48
	s_cbranch_vccz .LBB46_142
; %bb.27:
	s_mov_b32 s0, exec_lo
	s_barrier_signal -1
	s_barrier_wait -1
	v_cmpx_gt_u32_e64 s24, v41
	s_cbranch_execz .LBB46_30
; %bb.28:
	v_mov_b32_e32 v0, v41
	s_mov_b32 s1, 0
.LBB46_29:                              ; =>This Inner Loop Header: Depth=1
	global_store_b32 v0, v0, s[40:41] scale_offset
	s_wait_xcnt 0x0
	v_add_nc_u32_e32 v0, s46, v0
	s_delay_alu instid0(VALU_DEP_1) | instskip(SKIP_1) | instid1(SALU_CYCLE_1)
	v_cmp_le_u32_e32 vcc_lo, s24, v0
	s_or_b32 s1, vcc_lo, s1
	s_and_not1_b32 exec_lo, exec_lo, s1
	s_cbranch_execnz .LBB46_29
.LBB46_30:
	s_or_b32 exec_lo, exec_lo, s0
	v_or3_b32 v0, v44, v45, v43
	s_mov_b32 s14, exec_lo
	s_wait_storecnt 0x0
	s_barrier_signal -1
	s_barrier_wait -1
	v_cmpx_eq_u32_e32 0, v0
	s_cbranch_execz .LBB46_126
; %bb.31:
	s_cmp_lt_u32 s24, 0x2be
	s_cbranch_scc1 .LBB46_45
; %bb.32:
	v_mov_b32_e32 v4, 0
	s_mov_b64 s[0:1], 0xfffffffffffff50c
	s_mov_b64 s[4:5], 0xffffffffffffea18
	s_add_nc_u64 s[6:7], s[40:41], 0xaf4
	s_movk_i32 s15, 0x2bd
	s_movk_i32 s16, 0x57a
	s_mov_b64 s[8:9], s[36:37]
	s_branch .LBB46_34
.LBB46_33:                              ;   in Loop: Header=BB46_34 Depth=1
	v_mov_b32_e32 v2, s10
	s_add_co_i32 s15, s15, 1
	s_add_co_i32 s16, s16, 1
	s_add_nc_u64 s[6:7], s[6:7], 4
	s_add_nc_u64 s[8:9], s[8:9], 8
	s_cmp_eq_u32 s15, s24
	s_clause 0x1
	global_store_b64 v2, v[0:1], s[36:37] scale_offset
	global_store_b32 v2, v5, s[40:41] scale_offset
	s_cbranch_scc1 .LBB46_45
.LBB46_34:                              ; =>This Loop Header: Depth=1
                                        ;     Child Loop BB46_35 Depth 2
	s_wait_xcnt 0x0
	v_mov_b32_e32 v2, s15
	s_mov_b64 s[10:11], s[8:9]
	s_mov_b64 s[12:13], s[6:7]
	s_mov_b32 s17, s16
	s_clause 0x1
	global_load_b64 v[0:1], v2, s[36:37] scale_offset
	global_load_b32 v5, v2, s[40:41] scale_offset
.LBB46_35:                              ;   Parent Loop BB46_34 Depth=1
                                        ; =>  This Inner Loop Header: Depth=2
	global_load_b64 v[2:3], v4, s[10:11]
	s_mov_b32 s19, -1
	s_mov_b32 s20, -1
                                        ; implicit-def: $sgpr18
	s_wait_loadcnt 0x0
	v_cmp_nlt_f64_e32 vcc_lo, v[2:3], v[0:1]
	s_cbranch_vccnz .LBB46_37
; %bb.36:                               ;   in Loop: Header=BB46_35 Depth=2
	global_load_b32 v6, v4, s[12:13] offset:-2804
	s_add_co_i32 s18, s17, 0xfffffd43
	s_add_nc_u64 s[30:31], s[12:13], s[0:1]
	s_cmp_lt_i32 s18, 0x57a
	global_store_b64 v4, v[2:3], s[10:11] offset:5608
	s_wait_xcnt 0x0
	s_add_nc_u64 s[10:11], s[10:11], s[4:5]
	s_mov_b32 s19, 0
	s_cselect_b32 s20, -1, 0
	s_wait_loadcnt 0x0
	global_store_b32 v4, v6, s[12:13]
	s_wait_xcnt 0x0
	s_mov_b64 s[12:13], s[30:31]
.LBB46_37:                              ;   in Loop: Header=BB46_35 Depth=2
	s_and_not1_b32 vcc_lo, exec_lo, s20
	s_cbranch_vccz .LBB46_39
; %bb.38:                               ;   in Loop: Header=BB46_35 Depth=2
	s_mov_b32 s17, s18
	s_branch .LBB46_35
.LBB46_39:                              ;   in Loop: Header=BB46_34 Depth=1
	s_and_not1_b32 vcc_lo, exec_lo, s19
	s_wait_xcnt 0x0
	s_mov_b32 s11, -1
                                        ; implicit-def: $sgpr10
	s_cbranch_vccz .LBB46_41
; %bb.40:                               ;   in Loop: Header=BB46_34 Depth=1
	s_add_co_i32 s10, s18, 0xfffffd43
	s_mov_b32 s11, 0
.LBB46_41:                              ;   in Loop: Header=BB46_34 Depth=1
	s_delay_alu instid0(SALU_CYCLE_1)
	s_and_not1_b32 vcc_lo, exec_lo, s11
	s_cbranch_vccnz .LBB46_33
; %bb.42:                               ;   in Loop: Header=BB46_34 Depth=1
	s_add_co_i32 s10, s17, 0xfffffd43
	s_branch .LBB46_33
.LBB46_43:
	s_branch .LBB46_284
.LBB46_44:
	s_mov_b32 s56, 0
	s_cbranch_execnz .LBB46_168
	s_branch .LBB46_279
.LBB46_45:
	s_cmp_lt_i32 s24, 0x12e
	s_cbranch_scc1 .LBB46_57
; %bb.46:
	v_mov_b32_e32 v4, 0
	s_mov_b64 s[0:1], 0xfffffffffffffb4c
	s_mov_b64 s[4:5], 0xfffffffffffff698
	s_add_nc_u64 s[6:7], s[40:41], 0x4b4
	s_movk_i32 s15, 0x12d
	s_movk_i32 s16, 0x25a
	s_mov_b64 s[8:9], s[36:37]
	s_branch .LBB46_48
.LBB46_47:                              ;   in Loop: Header=BB46_48 Depth=1
	v_mov_b32_e32 v2, s10
	s_add_co_i32 s15, s15, 1
	s_add_co_i32 s16, s16, 1
	s_add_nc_u64 s[6:7], s[6:7], 4
	s_add_nc_u64 s[8:9], s[8:9], 8
	s_cmp_lg_u32 s15, s24
	s_clause 0x1
	global_store_b64 v2, v[0:1], s[36:37] scale_offset
	global_store_b32 v2, v5, s[40:41] scale_offset
	s_cbranch_scc0 .LBB46_57
.LBB46_48:                              ; =>This Loop Header: Depth=1
                                        ;     Child Loop BB46_49 Depth 2
	s_wait_xcnt 0x0
	v_mov_b32_e32 v2, s15
	s_mov_b64 s[10:11], s[8:9]
	s_mov_b64 s[12:13], s[6:7]
	s_mov_b32 s17, s16
	s_clause 0x1
	global_load_b64 v[0:1], v2, s[36:37] scale_offset
	global_load_b32 v5, v2, s[40:41] scale_offset
.LBB46_49:                              ;   Parent Loop BB46_48 Depth=1
                                        ; =>  This Inner Loop Header: Depth=2
	global_load_b64 v[2:3], v4, s[10:11]
	s_mov_b32 s19, -1
	s_mov_b32 s20, -1
                                        ; implicit-def: $sgpr18
	s_wait_loadcnt 0x0
	v_cmp_nlt_f64_e32 vcc_lo, v[2:3], v[0:1]
	s_cbranch_vccnz .LBB46_51
; %bb.50:                               ;   in Loop: Header=BB46_49 Depth=2
	global_load_b32 v6, v4, s[12:13] offset:-1204
	s_add_co_i32 s18, s17, 0xfffffed3
	s_add_nc_u64 s[30:31], s[12:13], s[0:1]
	s_cmp_lt_i32 s18, 0x25a
	global_store_b64 v4, v[2:3], s[10:11] offset:2408
	s_wait_xcnt 0x0
	s_add_nc_u64 s[10:11], s[10:11], s[4:5]
	s_mov_b32 s19, 0
	s_cselect_b32 s20, -1, 0
	s_wait_loadcnt 0x0
	global_store_b32 v4, v6, s[12:13]
	s_wait_xcnt 0x0
	s_mov_b64 s[12:13], s[30:31]
.LBB46_51:                              ;   in Loop: Header=BB46_49 Depth=2
	s_and_not1_b32 vcc_lo, exec_lo, s20
	s_cbranch_vccz .LBB46_53
; %bb.52:                               ;   in Loop: Header=BB46_49 Depth=2
	s_mov_b32 s17, s18
	s_branch .LBB46_49
.LBB46_53:                              ;   in Loop: Header=BB46_48 Depth=1
	s_and_not1_b32 vcc_lo, exec_lo, s19
	s_wait_xcnt 0x0
	s_mov_b32 s11, -1
                                        ; implicit-def: $sgpr10
	s_cbranch_vccz .LBB46_55
; %bb.54:                               ;   in Loop: Header=BB46_48 Depth=1
	s_add_co_i32 s10, s18, 0xfffffed3
	s_mov_b32 s11, 0
.LBB46_55:                              ;   in Loop: Header=BB46_48 Depth=1
	s_delay_alu instid0(SALU_CYCLE_1)
	s_and_not1_b32 vcc_lo, exec_lo, s11
	s_cbranch_vccnz .LBB46_47
; %bb.56:                               ;   in Loop: Header=BB46_48 Depth=1
	s_add_co_i32 s10, s17, 0xfffffed3
	s_branch .LBB46_47
.LBB46_57:
	s_cmp_lt_i32 s24, 0x85
	s_cbranch_scc1 .LBB46_69
; %bb.58:
	v_mov_b32_e32 v4, 0
	s_mov_b64 s[0:1], 0xfffffffffffffdf0
	s_mov_b64 s[4:5], 0xfffffffffffffbe0
	s_add_nc_u64 s[6:7], s[40:41], 0x210
	s_movk_i32 s15, 0x84
	s_movk_i32 s16, 0x108
	s_mov_b64 s[8:9], s[36:37]
	s_branch .LBB46_60
.LBB46_59:                              ;   in Loop: Header=BB46_60 Depth=1
	v_mov_b32_e32 v2, s10
	s_add_co_i32 s15, s15, 1
	s_add_co_i32 s16, s16, 1
	s_add_nc_u64 s[6:7], s[6:7], 4
	s_add_nc_u64 s[8:9], s[8:9], 8
	s_cmp_lg_u32 s15, s24
	s_clause 0x1
	global_store_b64 v2, v[0:1], s[36:37] scale_offset
	global_store_b32 v2, v5, s[40:41] scale_offset
	s_cbranch_scc0 .LBB46_69
.LBB46_60:                              ; =>This Loop Header: Depth=1
                                        ;     Child Loop BB46_61 Depth 2
	s_wait_xcnt 0x0
	v_mov_b32_e32 v2, s15
	s_mov_b64 s[10:11], s[8:9]
	s_mov_b64 s[12:13], s[6:7]
	s_mov_b32 s17, s16
	s_clause 0x1
	global_load_b64 v[0:1], v2, s[36:37] scale_offset
	global_load_b32 v5, v2, s[40:41] scale_offset
.LBB46_61:                              ;   Parent Loop BB46_60 Depth=1
                                        ; =>  This Inner Loop Header: Depth=2
	global_load_b64 v[2:3], v4, s[10:11]
	s_mov_b32 s19, -1
	s_mov_b32 s20, -1
                                        ; implicit-def: $sgpr18
	s_wait_loadcnt 0x0
	v_cmp_nlt_f64_e32 vcc_lo, v[2:3], v[0:1]
	s_cbranch_vccnz .LBB46_63
; %bb.62:                               ;   in Loop: Header=BB46_61 Depth=2
	global_load_b32 v6, v4, s[12:13] offset:-528
	s_add_co_i32 s18, s17, 0xffffff7c
	s_add_nc_u64 s[30:31], s[12:13], s[0:1]
	s_cmp_lt_i32 s18, 0x108
	global_store_b64 v4, v[2:3], s[10:11] offset:1056
	s_wait_xcnt 0x0
	s_add_nc_u64 s[10:11], s[10:11], s[4:5]
	s_mov_b32 s19, 0
	s_cselect_b32 s20, -1, 0
	s_wait_loadcnt 0x0
	global_store_b32 v4, v6, s[12:13]
	s_wait_xcnt 0x0
	s_mov_b64 s[12:13], s[30:31]
.LBB46_63:                              ;   in Loop: Header=BB46_61 Depth=2
	s_and_not1_b32 vcc_lo, exec_lo, s20
	s_cbranch_vccz .LBB46_65
; %bb.64:                               ;   in Loop: Header=BB46_61 Depth=2
	s_mov_b32 s17, s18
	s_branch .LBB46_61
.LBB46_65:                              ;   in Loop: Header=BB46_60 Depth=1
	s_and_not1_b32 vcc_lo, exec_lo, s19
	s_wait_xcnt 0x0
	s_mov_b32 s11, -1
                                        ; implicit-def: $sgpr10
	s_cbranch_vccz .LBB46_67
; %bb.66:                               ;   in Loop: Header=BB46_60 Depth=1
	s_add_co_i32 s10, s18, 0xffffff7c
	s_mov_b32 s11, 0
.LBB46_67:                              ;   in Loop: Header=BB46_60 Depth=1
	s_delay_alu instid0(SALU_CYCLE_1)
	s_and_not1_b32 vcc_lo, exec_lo, s11
	s_cbranch_vccnz .LBB46_59
; %bb.68:                               ;   in Loop: Header=BB46_60 Depth=1
	s_add_co_i32 s10, s17, 0xffffff7c
	s_branch .LBB46_59
.LBB46_69:
	s_cmp_lt_i32 s24, 58
	s_cbranch_scc1 .LBB46_81
; %bb.70:
	v_mov_b32_e32 v4, 0
	s_mov_b64 s[0:1], 0xffffffffffffff1c
	s_mov_b64 s[4:5], 0xfffffffffffffe38
	s_add_nc_u64 s[6:7], s[40:41], 0xe4
	s_mov_b32 s15, 57
	s_movk_i32 s16, 0x72
	s_mov_b64 s[8:9], s[36:37]
	s_branch .LBB46_72
.LBB46_71:                              ;   in Loop: Header=BB46_72 Depth=1
	v_mov_b32_e32 v2, s10
	s_add_co_i32 s15, s15, 1
	s_add_co_i32 s16, s16, 1
	s_add_nc_u64 s[6:7], s[6:7], 4
	s_add_nc_u64 s[8:9], s[8:9], 8
	s_cmp_lg_u32 s15, s24
	s_clause 0x1
	global_store_b64 v2, v[0:1], s[36:37] scale_offset
	global_store_b32 v2, v5, s[40:41] scale_offset
	s_cbranch_scc0 .LBB46_81
.LBB46_72:                              ; =>This Loop Header: Depth=1
                                        ;     Child Loop BB46_73 Depth 2
	s_wait_xcnt 0x0
	v_mov_b32_e32 v2, s15
	s_mov_b64 s[10:11], s[8:9]
	s_mov_b64 s[12:13], s[6:7]
	s_mov_b32 s17, s16
	s_clause 0x1
	global_load_b64 v[0:1], v2, s[36:37] scale_offset
	global_load_b32 v5, v2, s[40:41] scale_offset
.LBB46_73:                              ;   Parent Loop BB46_72 Depth=1
                                        ; =>  This Inner Loop Header: Depth=2
	global_load_b64 v[2:3], v4, s[10:11]
	s_mov_b32 s19, -1
	s_mov_b32 s20, -1
                                        ; implicit-def: $sgpr18
	s_wait_loadcnt 0x0
	v_cmp_nlt_f64_e32 vcc_lo, v[2:3], v[0:1]
	s_cbranch_vccnz .LBB46_75
; %bb.74:                               ;   in Loop: Header=BB46_73 Depth=2
	global_load_b32 v6, v4, s[12:13] offset:-228
	s_sub_co_i32 s18, s17, 57
	s_add_nc_u64 s[30:31], s[12:13], s[0:1]
	s_cmp_lt_i32 s18, 0x72
	global_store_b64 v4, v[2:3], s[10:11] offset:456
	s_wait_xcnt 0x0
	s_add_nc_u64 s[10:11], s[10:11], s[4:5]
	s_mov_b32 s19, 0
	s_cselect_b32 s20, -1, 0
	s_wait_loadcnt 0x0
	global_store_b32 v4, v6, s[12:13]
	s_wait_xcnt 0x0
	s_mov_b64 s[12:13], s[30:31]
.LBB46_75:                              ;   in Loop: Header=BB46_73 Depth=2
	s_and_not1_b32 vcc_lo, exec_lo, s20
	s_cbranch_vccz .LBB46_77
; %bb.76:                               ;   in Loop: Header=BB46_73 Depth=2
	s_mov_b32 s17, s18
	s_branch .LBB46_73
.LBB46_77:                              ;   in Loop: Header=BB46_72 Depth=1
	s_and_not1_b32 vcc_lo, exec_lo, s19
	s_wait_xcnt 0x0
	s_mov_b32 s11, -1
                                        ; implicit-def: $sgpr10
	s_cbranch_vccz .LBB46_79
; %bb.78:                               ;   in Loop: Header=BB46_72 Depth=1
	s_sub_co_i32 s10, s18, 57
	s_mov_b32 s11, 0
.LBB46_79:                              ;   in Loop: Header=BB46_72 Depth=1
	s_delay_alu instid0(SALU_CYCLE_1)
	s_and_not1_b32 vcc_lo, exec_lo, s11
	s_cbranch_vccnz .LBB46_71
; %bb.80:                               ;   in Loop: Header=BB46_72 Depth=1
	s_sub_co_i32 s10, s17, 57
	s_branch .LBB46_71
.LBB46_81:
	s_cmp_lt_i32 s24, 24
	s_cbranch_scc1 .LBB46_93
; %bb.82:
	v_mov_b32_e32 v4, 0
	s_mov_b64 s[0:1], 0xffffffffffffffa4
	s_mov_b64 s[4:5], 0xffffffffffffff48
	s_add_nc_u64 s[6:7], s[40:41], 0x5c
	s_mov_b32 s15, 23
	s_mov_b32 s16, 46
	s_mov_b64 s[8:9], s[36:37]
	s_branch .LBB46_84
.LBB46_83:                              ;   in Loop: Header=BB46_84 Depth=1
	v_mov_b32_e32 v2, s10
	s_add_co_i32 s15, s15, 1
	s_add_co_i32 s16, s16, 1
	s_add_nc_u64 s[6:7], s[6:7], 4
	s_add_nc_u64 s[8:9], s[8:9], 8
	s_cmp_lg_u32 s15, s24
	s_clause 0x1
	global_store_b64 v2, v[0:1], s[36:37] scale_offset
	global_store_b32 v2, v5, s[40:41] scale_offset
	s_cbranch_scc0 .LBB46_93
.LBB46_84:                              ; =>This Loop Header: Depth=1
                                        ;     Child Loop BB46_85 Depth 2
	s_wait_xcnt 0x0
	v_mov_b32_e32 v2, s15
	s_mov_b64 s[10:11], s[8:9]
	s_mov_b64 s[12:13], s[6:7]
	s_mov_b32 s17, s16
	s_clause 0x1
	global_load_b64 v[0:1], v2, s[36:37] scale_offset
	global_load_b32 v5, v2, s[40:41] scale_offset
.LBB46_85:                              ;   Parent Loop BB46_84 Depth=1
                                        ; =>  This Inner Loop Header: Depth=2
	global_load_b64 v[2:3], v4, s[10:11]
	s_mov_b32 s19, -1
	s_mov_b32 s20, -1
                                        ; implicit-def: $sgpr18
	s_wait_loadcnt 0x0
	v_cmp_nlt_f64_e32 vcc_lo, v[2:3], v[0:1]
	s_cbranch_vccnz .LBB46_87
; %bb.86:                               ;   in Loop: Header=BB46_85 Depth=2
	global_load_b32 v6, v4, s[12:13] offset:-92
	s_sub_co_i32 s18, s17, 23
	s_add_nc_u64 s[30:31], s[12:13], s[0:1]
	s_cmp_lt_i32 s18, 46
	global_store_b64 v4, v[2:3], s[10:11] offset:184
	s_wait_xcnt 0x0
	s_add_nc_u64 s[10:11], s[10:11], s[4:5]
	s_mov_b32 s19, 0
	s_cselect_b32 s20, -1, 0
	s_wait_loadcnt 0x0
	global_store_b32 v4, v6, s[12:13]
	s_wait_xcnt 0x0
	s_mov_b64 s[12:13], s[30:31]
.LBB46_87:                              ;   in Loop: Header=BB46_85 Depth=2
	s_and_not1_b32 vcc_lo, exec_lo, s20
	s_cbranch_vccz .LBB46_89
; %bb.88:                               ;   in Loop: Header=BB46_85 Depth=2
	s_mov_b32 s17, s18
	s_branch .LBB46_85
.LBB46_89:                              ;   in Loop: Header=BB46_84 Depth=1
	s_and_not1_b32 vcc_lo, exec_lo, s19
	s_wait_xcnt 0x0
	s_mov_b32 s11, -1
                                        ; implicit-def: $sgpr10
	s_cbranch_vccz .LBB46_91
; %bb.90:                               ;   in Loop: Header=BB46_84 Depth=1
	s_sub_co_i32 s10, s18, 23
	s_mov_b32 s11, 0
.LBB46_91:                              ;   in Loop: Header=BB46_84 Depth=1
	s_delay_alu instid0(SALU_CYCLE_1)
	s_and_not1_b32 vcc_lo, exec_lo, s11
	s_cbranch_vccnz .LBB46_83
; %bb.92:                               ;   in Loop: Header=BB46_84 Depth=1
	s_sub_co_i32 s10, s17, 23
	s_branch .LBB46_83
.LBB46_93:
	s_cmp_lt_i32 s24, 11
	s_cbranch_scc1 .LBB46_105
; %bb.94:
	v_mov_b32_e32 v4, 0
	s_mov_b64 s[0:1], 0xffffffffffffffd8
	s_mov_b64 s[4:5], 0xffffffffffffffb0
	s_add_nc_u64 s[6:7], s[40:41], 40
	s_mov_b32 s15, 10
	s_mov_b32 s16, 20
	s_mov_b64 s[8:9], s[36:37]
	s_branch .LBB46_96
.LBB46_95:                              ;   in Loop: Header=BB46_96 Depth=1
	v_mov_b32_e32 v2, s10
	s_add_co_i32 s15, s15, 1
	s_add_co_i32 s16, s16, 1
	s_add_nc_u64 s[6:7], s[6:7], 4
	s_add_nc_u64 s[8:9], s[8:9], 8
	s_cmp_lg_u32 s15, s24
	s_clause 0x1
	global_store_b64 v2, v[0:1], s[36:37] scale_offset
	global_store_b32 v2, v5, s[40:41] scale_offset
	s_cbranch_scc0 .LBB46_105
.LBB46_96:                              ; =>This Loop Header: Depth=1
                                        ;     Child Loop BB46_97 Depth 2
	s_wait_xcnt 0x0
	v_mov_b32_e32 v2, s15
	s_mov_b64 s[10:11], s[8:9]
	s_mov_b64 s[12:13], s[6:7]
	s_mov_b32 s17, s16
	s_clause 0x1
	global_load_b64 v[0:1], v2, s[36:37] scale_offset
	global_load_b32 v5, v2, s[40:41] scale_offset
.LBB46_97:                              ;   Parent Loop BB46_96 Depth=1
                                        ; =>  This Inner Loop Header: Depth=2
	global_load_b64 v[2:3], v4, s[10:11]
	s_mov_b32 s19, -1
	s_mov_b32 s20, -1
                                        ; implicit-def: $sgpr18
	s_wait_loadcnt 0x0
	v_cmp_nlt_f64_e32 vcc_lo, v[2:3], v[0:1]
	s_cbranch_vccnz .LBB46_99
; %bb.98:                               ;   in Loop: Header=BB46_97 Depth=2
	global_load_b32 v6, v4, s[12:13] offset:-40
	s_add_co_i32 s18, s17, -10
	s_add_nc_u64 s[30:31], s[12:13], s[0:1]
	s_cmp_lt_i32 s18, 20
	global_store_b64 v4, v[2:3], s[10:11] offset:80
	s_wait_xcnt 0x0
	s_add_nc_u64 s[10:11], s[10:11], s[4:5]
	s_mov_b32 s19, 0
	s_cselect_b32 s20, -1, 0
	s_wait_loadcnt 0x0
	global_store_b32 v4, v6, s[12:13]
	s_wait_xcnt 0x0
	s_mov_b64 s[12:13], s[30:31]
.LBB46_99:                              ;   in Loop: Header=BB46_97 Depth=2
	s_and_not1_b32 vcc_lo, exec_lo, s20
	s_cbranch_vccz .LBB46_101
; %bb.100:                              ;   in Loop: Header=BB46_97 Depth=2
	s_mov_b32 s17, s18
	s_branch .LBB46_97
.LBB46_101:                             ;   in Loop: Header=BB46_96 Depth=1
	s_and_not1_b32 vcc_lo, exec_lo, s19
	s_wait_xcnt 0x0
	s_mov_b32 s11, -1
                                        ; implicit-def: $sgpr10
	s_cbranch_vccz .LBB46_103
; %bb.102:                              ;   in Loop: Header=BB46_96 Depth=1
	s_add_co_i32 s10, s18, -10
	s_mov_b32 s11, 0
.LBB46_103:                             ;   in Loop: Header=BB46_96 Depth=1
	s_delay_alu instid0(SALU_CYCLE_1)
	s_and_not1_b32 vcc_lo, exec_lo, s11
	s_cbranch_vccnz .LBB46_95
; %bb.104:                              ;   in Loop: Header=BB46_96 Depth=1
	s_add_co_i32 s10, s17, -10
	s_branch .LBB46_95
.LBB46_105:
	s_cmp_lt_i32 s24, 5
	s_cbranch_scc1 .LBB46_117
; %bb.106:
	v_mov_b32_e32 v4, 0
	s_add_nc_u64 s[6:7], s[52:53], s[50:51]
	s_add_nc_u64 s[0:1], s[40:41], 16
	s_mov_b64 s[4:5], 0xffffffffffffffe0
	s_add_nc_u64 s[6:7], s[6:7], 32
	s_mov_b32 s12, 4
	s_mov_b32 s13, 8
	s_branch .LBB46_108
.LBB46_107:                             ;   in Loop: Header=BB46_108 Depth=1
	v_mov_b32_e32 v2, s8
	s_add_co_i32 s12, s12, 1
	s_add_co_i32 s13, s13, 1
	s_add_nc_u64 s[0:1], s[0:1], 4
	s_add_nc_u64 s[6:7], s[6:7], 8
	s_cmp_lg_u32 s12, s24
	s_clause 0x1
	global_store_b64 v2, v[0:1], s[36:37] scale_offset
	global_store_b32 v2, v5, s[40:41] scale_offset
	s_cbranch_scc0 .LBB46_117
.LBB46_108:                             ; =>This Loop Header: Depth=1
                                        ;     Child Loop BB46_109 Depth 2
	s_wait_xcnt 0x0
	v_mov_b32_e32 v2, s12
	s_mov_b64 s[8:9], s[6:7]
	s_mov_b64 s[10:11], s[0:1]
	s_mov_b32 s15, s13
	s_clause 0x1
	global_load_b64 v[0:1], v2, s[36:37] scale_offset
	global_load_b32 v5, v2, s[40:41] scale_offset
.LBB46_109:                             ;   Parent Loop BB46_108 Depth=1
                                        ; =>  This Inner Loop Header: Depth=2
	global_load_b64 v[2:3], v4, s[8:9] offset:-32
	s_mov_b32 s17, -1
	s_mov_b32 s18, -1
                                        ; implicit-def: $sgpr16
	s_wait_loadcnt 0x0
	v_cmp_nlt_f64_e32 vcc_lo, v[2:3], v[0:1]
	s_cbranch_vccnz .LBB46_111
; %bb.110:                              ;   in Loop: Header=BB46_109 Depth=2
	global_load_b32 v6, v4, s[10:11] offset:-16
	s_add_co_i32 s16, s15, -4
	s_add_nc_u64 s[30:31], s[10:11], -16
	s_cmp_lt_i32 s16, 8
	s_mov_b32 s17, 0
	s_cselect_b32 s18, -1, 0
	global_store_b64 v4, v[2:3], s[8:9]
	s_wait_loadcnt 0x0
	global_store_b32 v4, v6, s[10:11]
	s_wait_xcnt 0x0
	s_mov_b64 s[10:11], s[30:31]
.LBB46_111:                             ;   in Loop: Header=BB46_109 Depth=2
	s_and_not1_b32 vcc_lo, exec_lo, s18
	s_wait_xcnt 0x0
	s_add_nc_u64 s[8:9], s[8:9], s[4:5]
	s_cbranch_vccz .LBB46_113
; %bb.112:                              ;   in Loop: Header=BB46_109 Depth=2
	s_mov_b32 s15, s16
	s_branch .LBB46_109
.LBB46_113:                             ;   in Loop: Header=BB46_108 Depth=1
	s_and_not1_b32 vcc_lo, exec_lo, s17
	s_mov_b32 s9, -1
                                        ; implicit-def: $sgpr8
	s_cbranch_vccz .LBB46_115
; %bb.114:                              ;   in Loop: Header=BB46_108 Depth=1
	s_add_co_i32 s8, s16, -4
	s_mov_b32 s9, 0
.LBB46_115:                             ;   in Loop: Header=BB46_108 Depth=1
	s_delay_alu instid0(SALU_CYCLE_1)
	s_and_not1_b32 vcc_lo, exec_lo, s9
	s_cbranch_vccnz .LBB46_107
; %bb.116:                              ;   in Loop: Header=BB46_108 Depth=1
	s_add_co_i32 s8, s15, -4
	s_branch .LBB46_107
.LBB46_117:
	s_cmp_lt_i32 s24, 2
	s_mov_b32 s10, 2
	s_cbranch_scc1 .LBB46_126
; %bb.118:
	v_mov_b32_e32 v4, 0
	s_add_nc_u64 s[4:5], s[52:53], s[50:51]
	s_add_nc_u64 s[0:1], s[40:41], 4
	;; [unrolled: 1-line block ×3, first 2 shown]
	s_mov_b32 s11, 1
	s_branch .LBB46_120
.LBB46_119:                             ;   in Loop: Header=BB46_120 Depth=1
	v_mov_b32_e32 v2, s6
	s_add_co_i32 s11, s11, 1
	s_add_co_i32 s10, s10, 1
	s_add_nc_u64 s[0:1], s[0:1], 4
	s_add_nc_u64 s[4:5], s[4:5], 8
	s_cmp_eq_u32 s11, s24
	s_clause 0x1
	global_store_b64 v2, v[0:1], s[36:37] scale_offset
	global_store_b32 v2, v5, s[40:41] scale_offset
	s_cbranch_scc1 .LBB46_126
.LBB46_120:                             ; =>This Loop Header: Depth=1
                                        ;     Child Loop BB46_122 Depth 2
	s_wait_xcnt 0x0
	v_mov_b32_e32 v2, s11
	s_mov_b64 s[6:7], s[4:5]
	s_mov_b64 s[8:9], s[0:1]
	s_mov_b32 s13, s10
	s_clause 0x1
	global_load_b64 v[0:1], v2, s[36:37] scale_offset
	global_load_b32 v5, v2, s[40:41] scale_offset
	s_branch .LBB46_122
.LBB46_121:                             ;   in Loop: Header=BB46_122 Depth=2
	s_and_not1_b32 vcc_lo, exec_lo, s16
	s_wait_xcnt 0x0
	s_add_nc_u64 s[6:7], s[6:7], -8
	s_cbranch_vccz .LBB46_124
.LBB46_122:                             ;   Parent Loop BB46_120 Depth=1
                                        ; =>  This Inner Loop Header: Depth=2
	global_load_b64 v[2:3], v4, s[6:7] offset:-8
	s_mov_b32 s12, s13
	s_mov_b32 s15, -1
	s_mov_b32 s16, -1
                                        ; implicit-def: $sgpr13
	s_wait_loadcnt 0x0
	v_cmp_nlt_f64_e32 vcc_lo, v[2:3], v[0:1]
	s_cbranch_vccnz .LBB46_121
; %bb.123:                              ;   in Loop: Header=BB46_122 Depth=2
	global_load_b32 v6, v4, s[8:9] offset:-4
	s_add_co_i32 s13, s12, -1
	s_add_nc_u64 s[18:19], s[8:9], -4
	s_cmp_lt_i32 s13, 2
	s_mov_b32 s15, 0
	s_cselect_b32 s16, -1, 0
	global_store_b64 v4, v[2:3], s[6:7]
	s_wait_loadcnt 0x0
	global_store_b32 v4, v6, s[8:9]
	s_wait_xcnt 0x0
	s_mov_b64 s[8:9], s[18:19]
	s_branch .LBB46_121
.LBB46_124:                             ;   in Loop: Header=BB46_120 Depth=1
	s_and_b32 vcc_lo, exec_lo, s15
	s_mov_b32 s6, 0
	s_cbranch_vccz .LBB46_119
; %bb.125:                              ;   in Loop: Header=BB46_120 Depth=1
	s_add_co_i32 s6, s12, -1
	s_branch .LBB46_119
.LBB46_126:
	s_wait_xcnt 0x0
	s_or_b32 exec_lo, exec_lo, s14
	s_cmp_lt_i32 s24, 2
	s_mov_b32 s58, 0
	s_cselect_b32 s5, -1, 0
	s_wait_storecnt 0x0
	s_and_b32 vcc_lo, exec_lo, s5
	s_barrier_signal -1
	s_barrier_wait -1
	s_cbranch_vccnz .LBB46_134
; %bb.127:
	s_add_co_i32 s4, s24, -1
	s_mov_b32 s5, -1
	s_mov_b32 s0, 0
	s_mov_b32 s1, exec_lo
	v_cmpx_gt_u32_e64 s4, v41
	s_cbranch_execz .LBB46_136
; %bb.128:
	v_dual_mov_b32 v1, 0 :: v_dual_mov_b32 v0, v41
	s_mov_b32 s5, 0
                                        ; implicit-def: $sgpr6
	s_branch .LBB46_130
.LBB46_129:                             ;   in Loop: Header=BB46_130 Depth=1
	s_or_b32 exec_lo, exec_lo, s9
	s_xor_b32 s7, s8, -1
	s_and_b32 s0, exec_lo, s0
	s_delay_alu instid0(SALU_CYCLE_1) | instskip(SKIP_2) | instid1(SALU_CYCLE_1)
	s_or_b32 s5, s0, s5
	s_and_not1_b32 s0, s6, exec_lo
	s_and_b32 s6, s7, exec_lo
	s_or_b32 s6, s0, s6
	s_and_not1_b32 exec_lo, exec_lo, s5
	s_cbranch_execz .LBB46_135
.LBB46_130:                             ; =>This Inner Loop Header: Depth=1
	global_load_b64 v[2:3], v0, s[36:37] scale_offset
	s_mov_b32 s8, exec_lo
	s_wait_loadcnt 0x0
	v_cmp_u_f64_e64 s7, v[2:3], v[2:3]
	v_cmpx_o_f64_e32 v[2:3], v[2:3]
	s_cbranch_execz .LBB46_132
; %bb.131:                              ;   in Loop: Header=BB46_130 Depth=1
	v_lshl_add_u64 v[4:5], v[0:1], 3, s[36:37]
	s_and_not1_b32 s7, s7, exec_lo
	global_load_b64 v[4:5], v[4:5], off offset:8
	s_wait_loadcnt 0x0
	v_cmp_u_f64_e32 vcc_lo, v[4:5], v[4:5]
	v_cmp_ge_f64_e64 s0, v[2:3], v[4:5]
	s_or_b32 s0, vcc_lo, s0
	s_delay_alu instid0(SALU_CYCLE_1) | instskip(NEXT) | instid1(SALU_CYCLE_1)
	s_and_b32 s0, s0, exec_lo
	s_or_b32 s7, s7, s0
.LBB46_132:                             ;   in Loop: Header=BB46_130 Depth=1
	s_or_b32 exec_lo, exec_lo, s8
	s_mov_b32 s0, -1
	s_mov_b32 s8, -1
	s_and_saveexec_b32 s9, s7
	s_cbranch_execz .LBB46_129
; %bb.133:                              ;   in Loop: Header=BB46_130 Depth=1
	v_add_nc_u32_e32 v0, s46, v0
	s_xor_b32 s8, exec_lo, -1
	s_delay_alu instid0(VALU_DEP_1)
	v_cmp_le_u32_e32 vcc_lo, s4, v0
	s_or_not1_b32 s0, vcc_lo, exec_lo
	s_branch .LBB46_129
.LBB46_134:
	s_mov_b32 s0, 0
	s_branch .LBB46_137
.LBB46_135:
	s_or_b32 exec_lo, exec_lo, s5
	s_delay_alu instid0(SALU_CYCLE_1)
	s_mov_b32 s0, exec_lo
	s_or_not1_b32 s5, s6, exec_lo
.LBB46_136:
	s_or_b32 exec_lo, exec_lo, s1
.LBB46_137:
	s_and_saveexec_b32 s1, s5
	s_cbranch_execz .LBB46_139
; %bb.138:
	s_mov_b32 s58, exec_lo
	s_barrier_signal -1
	s_barrier_wait -1
	s_and_not1_b32 s0, s0, exec_lo
.LBB46_139:
	s_or_b32 exec_lo, exec_lo, s1
	s_mov_b32 s54, 0
	s_and_saveexec_b32 s59, s0
	s_cbranch_execz .LBB46_141
; %bb.140:
	s_get_pc_i64 s[0:1]
	s_add_nc_u64 s[0:1], s[0:1], __PRETTY_FUNCTION__._ZN9rocsolver6v33100L21shell_sort_descendingIdiEEvT0_PT_PS2_@rel64+4
	s_add_nc_u64 s[8:9], s[2:3], 0x90
	v_dual_mov_b32 v0, s0 :: v_dual_mov_b32 v1, s1
	s_get_pc_i64 s[4:5]
	s_add_nc_u64 s[4:5], s[4:5], __assert_fail@rel64+4
	s_mov_b64 s[54:55], s[2:3]
	s_swap_pc_i64 s[30:31], s[4:5]
	s_mov_b64 s[2:3], s[54:55]
	s_mov_b32 s54, exec_lo
.LBB46_141:
	s_or_b32 exec_lo, exec_lo, s59
.LBB46_142:
	s_and_saveexec_b32 s20, s58
	s_cbranch_execz .LBB46_167
; %bb.143:
	s_and_not1_b32 vcc_lo, exec_lo, s57
	s_wait_storecnt 0x0
	s_barrier_signal -1
	s_barrier_wait -1
	s_cbranch_vccnz .LBB46_166
; %bb.144:
	v_dual_mov_b32 v1, 0 :: v_dual_lshlrev_b32 v6, 4, v42
	s_cmp_gt_i32 s25, 0
	v_cmp_eq_u32_e64 s0, 0, v41
	s_cselect_b32 s30, -1, 0
	s_ashr_i32 s9, s47, 31
	s_cmp_gt_i32 s26, 0
	v_add_nc_u32_e32 v7, 0x8000, v6
	v_add_nc_u32_e32 v8, 0x4000, v6
	v_cmp_gt_u32_e64 s1, s25, v41
	s_cselect_b32 s31, -1, 0
	v_cmp_gt_u32_e64 s4, s26, v41
	s_ashr_i32 s11, s43, 31
	v_cmp_gt_u32_e64 s5, s27, v41
	s_mov_b32 s7, 0
	s_cmp_gt_i32 s27, 0
	s_mov_b32 s8, s47
	s_mov_b32 s10, s43
	s_cselect_b32 s33, -1, 0
	s_ashr_i32 s13, s49, 31
	s_mov_b32 s12, s49
	s_mov_b32 s6, s7
	s_branch .LBB46_146
.LBB46_145:                             ;   in Loop: Header=BB46_146 Depth=1
	s_add_co_i32 s6, s6, 1
	s_delay_alu instid0(SALU_CYCLE_1)
	s_cmp_eq_u32 s6, s24
	s_cbranch_scc1 .LBB46_166
.LBB46_146:                             ; =>This Loop Header: Depth=1
                                        ;     Child Loop BB46_150 Depth 2
                                        ;       Child Loop BB46_155 Depth 3
                                        ;       Child Loop BB46_160 Depth 3
	;; [unrolled: 1-line block ×3, first 2 shown]
	v_mov_b32_e32 v0, s6
	global_load_b32 v2, v0, s[40:41] scale_offset
	s_wait_loadcnt 0x0
	v_cmp_eq_u32_e32 vcc_lo, s6, v2
	s_cbranch_vccnz .LBB46_145
; %bb.147:                              ;   in Loop: Header=BB46_146 Depth=1
	s_lshl_b64 s[14:15], s[6:7], 2
	s_delay_alu instid0(SALU_CYCLE_1)
	s_add_nc_u64 s[14:15], s[40:41], s[14:15]
	s_branch .LBB46_150
.LBB46_148:                             ;   in Loop: Header=BB46_150 Depth=2
	s_or_b32 exec_lo, exec_lo, s18
	s_wait_storecnt_dscnt 0x0
	s_barrier_signal -1
	s_barrier_wait -1
.LBB46_149:                             ;   in Loop: Header=BB46_150 Depth=2
	global_load_b32 v2, v1, s[14:15]
	s_wait_loadcnt 0x0
	v_cmp_ne_u32_e32 vcc_lo, s6, v2
	s_cbranch_vccz .LBB46_145
.LBB46_150:                             ;   Parent Loop BB46_146 Depth=1
                                        ; =>  This Loop Header: Depth=2
                                        ;       Child Loop BB46_155 Depth 3
                                        ;       Child Loop BB46_160 Depth 3
	;; [unrolled: 1-line block ×3, first 2 shown]
	global_load_b32 v0, v2, s[40:41] scale_offset
	v_ashrrev_i32_e32 v3, 31, v2
	s_wait_loadcnt 0x0
	s_barrier_signal -1
	s_barrier_wait -1
	v_readfirstlane_b32 s16, v0
	s_wait_xcnt 0x0
	s_and_saveexec_b32 s17, s0
	s_cbranch_execz .LBB46_152
; %bb.151:                              ;   in Loop: Header=BB46_150 Depth=2
	v_lshlrev_b64_e32 v[4:5], 2, v[2:3]
	v_mov_b32_e32 v0, s16
	s_delay_alu instid0(VALU_DEP_2)
	v_add_nc_u64_e32 v[4:5], s[40:41], v[4:5]
	s_clause 0x1
	global_store_b32 v[4:5], v2, off
	global_store_b32 v1, v0, s[14:15]
.LBB46_152:                             ;   in Loop: Header=BB46_150 Depth=2
	s_wait_xcnt 0x0
	s_or_b32 exec_lo, exec_lo, s17
	s_delay_alu instid0(SALU_CYCLE_1)
	s_and_not1_b32 vcc_lo, exec_lo, s30
	s_wait_storecnt 0x0
	s_barrier_signal -1
	s_barrier_wait -1
	s_cbranch_vccnz .LBB46_157
; %bb.153:                              ;   in Loop: Header=BB46_150 Depth=2
	s_and_saveexec_b32 s18, s1
	s_cbranch_execz .LBB46_156
; %bb.154:                              ;   in Loop: Header=BB46_150 Depth=2
	v_mov_b32_e32 v0, v41
	s_ashr_i32 s17, s16, 31
	s_mov_b32 s19, 0
.LBB46_155:                             ;   Parent Loop BB46_146 Depth=1
                                        ;     Parent Loop BB46_150 Depth=2
                                        ; =>    This Inner Loop Header: Depth=3
	s_delay_alu instid0(VALU_DEP_1) | instskip(SKIP_1) | instid1(VALU_DEP_1)
	v_mul_u64_e32 v[4:5], s[8:9], v[0:1]
	v_add_nc_u32_e32 v0, s46, v0
	v_cmp_le_u32_e32 vcc_lo, s25, v0
	s_or_b32 s19, vcc_lo, s19
	s_delay_alu instid0(VALU_DEP_3) | instskip(NEXT) | instid1(VALU_DEP_1)
	v_lshl_add_u64 v[4:5], v[4:5], 4, s[34:35]
	v_lshl_add_u64 v[18:19], v[2:3], 4, v[4:5]
	;; [unrolled: 1-line block ×3, first 2 shown]
	s_clause 0x1
	global_load_b128 v[10:13], v[18:19], off
	global_load_b128 v[14:17], v[4:5], off
	s_wait_loadcnt 0x1
	ds_store_2addr_b64 v6, v[10:11], v[12:13] offset1:1
	s_wait_loadcnt 0x0
	s_clause 0x1
	global_store_b128 v[18:19], v[14:17], off
	global_store_b128 v[4:5], v[10:13], off
	s_wait_xcnt 0x0
	s_and_not1_b32 exec_lo, exec_lo, s19
	s_cbranch_execnz .LBB46_155
.LBB46_156:                             ;   in Loop: Header=BB46_150 Depth=2
	s_or_b32 exec_lo, exec_lo, s18
	s_wait_storecnt_dscnt 0x0
	s_barrier_signal -1
	s_barrier_wait -1
.LBB46_157:                             ;   in Loop: Header=BB46_150 Depth=2
	s_and_not1_b32 vcc_lo, exec_lo, s31
	s_cbranch_vccnz .LBB46_162
; %bb.158:                              ;   in Loop: Header=BB46_150 Depth=2
	s_and_saveexec_b32 s55, s4
	s_cbranch_execz .LBB46_161
; %bb.159:                              ;   in Loop: Header=BB46_150 Depth=2
	v_mul_u64_e32 v[4:5], s[10:11], v[2:3]
	s_ashr_i32 s17, s16, 31
	v_mov_b32_e32 v0, v41
	s_mul_u64 s[18:19], s[16:17], s[10:11]
	s_mov_b32 s17, 0
	s_lshl_b64 s[18:19], s[18:19], 4
	s_delay_alu instid0(SALU_CYCLE_1) | instskip(NEXT) | instid1(VALU_DEP_2)
	s_add_nc_u64 s[18:19], s[28:29], s[18:19]
	v_lshlrev_b64_e32 v[4:5], 4, v[4:5]
	s_delay_alu instid0(VALU_DEP_1)
	v_add_nc_u64_e32 v[4:5], s[28:29], v[4:5]
.LBB46_160:                             ;   Parent Loop BB46_146 Depth=1
                                        ;     Parent Loop BB46_150 Depth=2
                                        ; =>    This Inner Loop Header: Depth=3
	s_delay_alu instid0(VALU_DEP_1) | instskip(NEXT) | instid1(VALU_DEP_2)
	v_readfirstlane_b32 s56, v4
	v_readfirstlane_b32 s57, v5
	s_clause 0x1
	global_load_b128 v[10:13], v0, s[18:19] scale_offset
	global_load_b128 v[14:17], v0, s[56:57] scale_offset
	s_wait_loadcnt 0x1
	global_store_b128 v0, v[10:13], s[56:57] scale_offset
	s_wait_loadcnt 0x0
	global_store_b128 v0, v[14:17], s[18:19] scale_offset
	s_wait_xcnt 0x0
	v_add_nc_u32_e32 v0, s46, v0
	ds_store_2addr_b64 v8, v[14:15], v[16:17] offset1:1
	v_cmp_le_u32_e32 vcc_lo, s26, v0
	s_or_b32 s17, vcc_lo, s17
	s_delay_alu instid0(SALU_CYCLE_1)
	s_and_not1_b32 exec_lo, exec_lo, s17
	s_cbranch_execnz .LBB46_160
.LBB46_161:                             ;   in Loop: Header=BB46_150 Depth=2
	s_or_b32 exec_lo, exec_lo, s55
	s_wait_storecnt_dscnt 0x0
	s_barrier_signal -1
	s_barrier_wait -1
.LBB46_162:                             ;   in Loop: Header=BB46_150 Depth=2
	s_and_not1_b32 vcc_lo, exec_lo, s33
	s_cbranch_vccnz .LBB46_149
; %bb.163:                              ;   in Loop: Header=BB46_150 Depth=2
	s_and_saveexec_b32 s18, s5
	s_cbranch_execz .LBB46_148
; %bb.164:                              ;   in Loop: Header=BB46_150 Depth=2
	v_mov_b32_e32 v0, v41
	s_ashr_i32 s17, s16, 31
	s_mov_b32 s19, 0
.LBB46_165:                             ;   Parent Loop BB46_146 Depth=1
                                        ;     Parent Loop BB46_150 Depth=2
                                        ; =>    This Inner Loop Header: Depth=3
	s_delay_alu instid0(VALU_DEP_1) | instskip(SKIP_1) | instid1(VALU_DEP_1)
	v_mul_u64_e32 v[4:5], s[12:13], v[0:1]
	v_add_nc_u32_e32 v0, s46, v0
	v_cmp_le_u32_e32 vcc_lo, s27, v0
	s_or_b32 s19, vcc_lo, s19
	s_delay_alu instid0(VALU_DEP_3) | instskip(NEXT) | instid1(VALU_DEP_1)
	v_lshl_add_u64 v[4:5], v[4:5], 4, s[44:45]
	v_lshl_add_u64 v[18:19], v[2:3], 4, v[4:5]
	;; [unrolled: 1-line block ×3, first 2 shown]
	s_clause 0x1
	global_load_b128 v[10:13], v[18:19], off
	global_load_b128 v[14:17], v[4:5], off
	s_wait_loadcnt 0x1
	ds_store_2addr_b64 v7, v[10:11], v[12:13] offset1:1
	s_wait_loadcnt 0x0
	s_clause 0x1
	global_store_b128 v[18:19], v[14:17], off
	global_store_b128 v[4:5], v[10:13], off
	s_wait_xcnt 0x0
	s_and_not1_b32 exec_lo, exec_lo, s19
	s_cbranch_execnz .LBB46_165
	s_branch .LBB46_148
.LBB46_166:
	s_mov_b32 s56, exec_lo
.LBB46_167:
	s_or_b32 exec_lo, exec_lo, s20
	s_branch .LBB46_279
.LBB46_168:
	s_and_b32 vcc_lo, exec_lo, s48
	s_mov_b32 s56, -1
	s_cbranch_vccz .LBB46_279
; %bb.169:
	v_or3_b32 v0, v44, v45, v43
	s_mov_b32 s8, exec_lo
	s_wait_storecnt 0x0
	s_barrier_signal -1
	s_barrier_wait -1
	s_barrier_signal -1
	s_barrier_wait -1
	v_cmpx_eq_u32_e32 0, v0
	s_cbranch_execz .LBB46_263
; %bb.170:
	s_cmp_lt_u32 s24, 0x2be
	s_cbranch_scc1 .LBB46_182
; %bb.171:
	v_mov_b32_e32 v4, 0
	s_add_nc_u64 s[4:5], s[52:53], s[50:51]
	s_mov_b64 s[0:1], 0xffffffffffffea18
	s_add_nc_u64 s[4:5], s[4:5], 0x15e8
	s_movk_i32 s9, 0x2bd
	s_movk_i32 s10, 0x57a
	s_branch .LBB46_173
.LBB46_172:                             ;   in Loop: Header=BB46_173 Depth=1
	v_mov_b32_e32 v2, s6
	s_add_co_i32 s9, s9, 1
	s_add_co_i32 s10, s10, 1
	s_cmp_eq_u32 s9, s24
	s_add_nc_u64 s[4:5], s[4:5], 8
	global_store_b64 v2, v[0:1], s[36:37] scale_offset
	s_cbranch_scc1 .LBB46_182
.LBB46_173:                             ; =>This Loop Header: Depth=1
                                        ;     Child Loop BB46_174 Depth 2
	s_wait_xcnt 0x0
	v_mov_b32_e32 v0, s9
	s_mov_b64 s[6:7], s[4:5]
	s_mov_b32 s11, s10
	global_load_b64 v[0:1], v0, s[36:37] scale_offset
.LBB46_174:                             ;   Parent Loop BB46_173 Depth=1
                                        ; =>  This Inner Loop Header: Depth=2
	global_load_b64 v[2:3], v4, s[6:7] offset:-5608
	s_mov_b32 s13, -1
	s_mov_b32 s14, -1
                                        ; implicit-def: $sgpr12
	s_wait_loadcnt 0x0
	v_cmp_nlt_f64_e32 vcc_lo, v[2:3], v[0:1]
	s_cbranch_vccnz .LBB46_176
; %bb.175:                              ;   in Loop: Header=BB46_174 Depth=2
	s_add_co_i32 s12, s11, 0xfffffd43
	s_mov_b32 s13, 0
	s_cmp_lt_i32 s12, 0x57a
	global_store_b64 v4, v[2:3], s[6:7]
	s_cselect_b32 s14, -1, 0
.LBB46_176:                             ;   in Loop: Header=BB46_174 Depth=2
	s_delay_alu instid0(SALU_CYCLE_1)
	s_and_not1_b32 vcc_lo, exec_lo, s14
	s_wait_xcnt 0x0
	s_add_nc_u64 s[6:7], s[6:7], s[0:1]
	s_cbranch_vccz .LBB46_178
; %bb.177:                              ;   in Loop: Header=BB46_174 Depth=2
	s_mov_b32 s11, s12
	s_branch .LBB46_174
.LBB46_178:                             ;   in Loop: Header=BB46_173 Depth=1
	s_and_not1_b32 vcc_lo, exec_lo, s13
	s_mov_b32 s7, -1
                                        ; implicit-def: $sgpr6
	s_cbranch_vccz .LBB46_180
; %bb.179:                              ;   in Loop: Header=BB46_173 Depth=1
	s_add_co_i32 s6, s12, 0xfffffd43
	s_mov_b32 s7, 0
.LBB46_180:                             ;   in Loop: Header=BB46_173 Depth=1
	s_delay_alu instid0(SALU_CYCLE_1)
	s_and_not1_b32 vcc_lo, exec_lo, s7
	s_cbranch_vccnz .LBB46_172
; %bb.181:                              ;   in Loop: Header=BB46_173 Depth=1
	s_add_co_i32 s6, s11, 0xfffffd43
	s_branch .LBB46_172
.LBB46_182:
	s_cmp_lt_i32 s24, 0x12e
	s_cbranch_scc1 .LBB46_194
; %bb.183:
	v_mov_b32_e32 v4, 0
	s_add_nc_u64 s[4:5], s[52:53], s[50:51]
	s_mov_b64 s[0:1], 0xfffffffffffff698
	s_add_nc_u64 s[4:5], s[4:5], 0x968
	s_movk_i32 s9, 0x12d
	s_movk_i32 s10, 0x25a
	s_branch .LBB46_185
.LBB46_184:                             ;   in Loop: Header=BB46_185 Depth=1
	v_mov_b32_e32 v2, s6
	s_add_co_i32 s9, s9, 1
	s_add_co_i32 s10, s10, 1
	s_cmp_lg_u32 s9, s24
	s_add_nc_u64 s[4:5], s[4:5], 8
	global_store_b64 v2, v[0:1], s[36:37] scale_offset
	s_cbranch_scc0 .LBB46_194
.LBB46_185:                             ; =>This Loop Header: Depth=1
                                        ;     Child Loop BB46_186 Depth 2
	s_wait_xcnt 0x0
	v_mov_b32_e32 v0, s9
	s_mov_b64 s[6:7], s[4:5]
	s_mov_b32 s11, s10
	global_load_b64 v[0:1], v0, s[36:37] scale_offset
.LBB46_186:                             ;   Parent Loop BB46_185 Depth=1
                                        ; =>  This Inner Loop Header: Depth=2
	global_load_b64 v[2:3], v4, s[6:7] offset:-2408
	s_mov_b32 s13, -1
	s_mov_b32 s14, -1
                                        ; implicit-def: $sgpr12
	s_wait_loadcnt 0x0
	v_cmp_nlt_f64_e32 vcc_lo, v[2:3], v[0:1]
	s_cbranch_vccnz .LBB46_188
; %bb.187:                              ;   in Loop: Header=BB46_186 Depth=2
	s_add_co_i32 s12, s11, 0xfffffed3
	s_mov_b32 s13, 0
	s_cmp_lt_i32 s12, 0x25a
	global_store_b64 v4, v[2:3], s[6:7]
	s_cselect_b32 s14, -1, 0
.LBB46_188:                             ;   in Loop: Header=BB46_186 Depth=2
	s_delay_alu instid0(SALU_CYCLE_1)
	s_and_not1_b32 vcc_lo, exec_lo, s14
	s_wait_xcnt 0x0
	s_add_nc_u64 s[6:7], s[6:7], s[0:1]
	s_cbranch_vccz .LBB46_190
; %bb.189:                              ;   in Loop: Header=BB46_186 Depth=2
	s_mov_b32 s11, s12
	s_branch .LBB46_186
.LBB46_190:                             ;   in Loop: Header=BB46_185 Depth=1
	s_and_not1_b32 vcc_lo, exec_lo, s13
	s_mov_b32 s7, -1
                                        ; implicit-def: $sgpr6
	s_cbranch_vccz .LBB46_192
; %bb.191:                              ;   in Loop: Header=BB46_185 Depth=1
	s_add_co_i32 s6, s12, 0xfffffed3
	s_mov_b32 s7, 0
.LBB46_192:                             ;   in Loop: Header=BB46_185 Depth=1
	s_delay_alu instid0(SALU_CYCLE_1)
	s_and_not1_b32 vcc_lo, exec_lo, s7
	s_cbranch_vccnz .LBB46_184
; %bb.193:                              ;   in Loop: Header=BB46_185 Depth=1
	s_add_co_i32 s6, s11, 0xfffffed3
	s_branch .LBB46_184
.LBB46_194:
	s_cmp_lt_i32 s24, 0x85
	s_cbranch_scc1 .LBB46_206
; %bb.195:
	v_mov_b32_e32 v4, 0
	s_add_nc_u64 s[4:5], s[52:53], s[50:51]
	s_mov_b64 s[0:1], 0xfffffffffffffbe0
	s_add_nc_u64 s[4:5], s[4:5], 0x420
	s_movk_i32 s9, 0x84
	s_movk_i32 s10, 0x108
	s_branch .LBB46_197
.LBB46_196:                             ;   in Loop: Header=BB46_197 Depth=1
	v_mov_b32_e32 v2, s6
	s_add_co_i32 s9, s9, 1
	s_add_co_i32 s10, s10, 1
	s_cmp_lg_u32 s9, s24
	s_add_nc_u64 s[4:5], s[4:5], 8
	global_store_b64 v2, v[0:1], s[36:37] scale_offset
	s_cbranch_scc0 .LBB46_206
.LBB46_197:                             ; =>This Loop Header: Depth=1
                                        ;     Child Loop BB46_198 Depth 2
	s_wait_xcnt 0x0
	v_mov_b32_e32 v0, s9
	s_mov_b64 s[6:7], s[4:5]
	s_mov_b32 s11, s10
	global_load_b64 v[0:1], v0, s[36:37] scale_offset
.LBB46_198:                             ;   Parent Loop BB46_197 Depth=1
                                        ; =>  This Inner Loop Header: Depth=2
	global_load_b64 v[2:3], v4, s[6:7] offset:-1056
	s_mov_b32 s13, -1
	s_mov_b32 s14, -1
                                        ; implicit-def: $sgpr12
	s_wait_loadcnt 0x0
	v_cmp_nlt_f64_e32 vcc_lo, v[2:3], v[0:1]
	s_cbranch_vccnz .LBB46_200
; %bb.199:                              ;   in Loop: Header=BB46_198 Depth=2
	s_add_co_i32 s12, s11, 0xffffff7c
	s_mov_b32 s13, 0
	s_cmp_lt_i32 s12, 0x108
	global_store_b64 v4, v[2:3], s[6:7]
	s_cselect_b32 s14, -1, 0
.LBB46_200:                             ;   in Loop: Header=BB46_198 Depth=2
	s_delay_alu instid0(SALU_CYCLE_1)
	s_and_not1_b32 vcc_lo, exec_lo, s14
	s_wait_xcnt 0x0
	s_add_nc_u64 s[6:7], s[6:7], s[0:1]
	s_cbranch_vccz .LBB46_202
; %bb.201:                              ;   in Loop: Header=BB46_198 Depth=2
	s_mov_b32 s11, s12
	s_branch .LBB46_198
.LBB46_202:                             ;   in Loop: Header=BB46_197 Depth=1
	s_and_not1_b32 vcc_lo, exec_lo, s13
	s_mov_b32 s7, -1
                                        ; implicit-def: $sgpr6
	s_cbranch_vccz .LBB46_204
; %bb.203:                              ;   in Loop: Header=BB46_197 Depth=1
	s_add_co_i32 s6, s12, 0xffffff7c
	s_mov_b32 s7, 0
.LBB46_204:                             ;   in Loop: Header=BB46_197 Depth=1
	s_delay_alu instid0(SALU_CYCLE_1)
	s_and_not1_b32 vcc_lo, exec_lo, s7
	s_cbranch_vccnz .LBB46_196
; %bb.205:                              ;   in Loop: Header=BB46_197 Depth=1
	s_add_co_i32 s6, s11, 0xffffff7c
	s_branch .LBB46_196
.LBB46_206:
	s_cmp_lt_i32 s24, 58
	s_cbranch_scc1 .LBB46_218
; %bb.207:
	v_mov_b32_e32 v4, 0
	s_add_nc_u64 s[4:5], s[52:53], s[50:51]
	s_mov_b64 s[0:1], 0xfffffffffffffe38
	s_add_nc_u64 s[4:5], s[4:5], 0x1c8
	s_mov_b32 s9, 57
	s_movk_i32 s10, 0x72
	s_branch .LBB46_209
.LBB46_208:                             ;   in Loop: Header=BB46_209 Depth=1
	v_mov_b32_e32 v2, s6
	s_add_co_i32 s9, s9, 1
	s_add_co_i32 s10, s10, 1
	s_cmp_lg_u32 s9, s24
	s_add_nc_u64 s[4:5], s[4:5], 8
	global_store_b64 v2, v[0:1], s[36:37] scale_offset
	s_cbranch_scc0 .LBB46_218
.LBB46_209:                             ; =>This Loop Header: Depth=1
                                        ;     Child Loop BB46_210 Depth 2
	s_wait_xcnt 0x0
	v_mov_b32_e32 v0, s9
	s_mov_b64 s[6:7], s[4:5]
	s_mov_b32 s11, s10
	global_load_b64 v[0:1], v0, s[36:37] scale_offset
.LBB46_210:                             ;   Parent Loop BB46_209 Depth=1
                                        ; =>  This Inner Loop Header: Depth=2
	global_load_b64 v[2:3], v4, s[6:7] offset:-456
	s_mov_b32 s13, -1
	s_mov_b32 s14, -1
                                        ; implicit-def: $sgpr12
	s_wait_loadcnt 0x0
	v_cmp_nlt_f64_e32 vcc_lo, v[2:3], v[0:1]
	s_cbranch_vccnz .LBB46_212
; %bb.211:                              ;   in Loop: Header=BB46_210 Depth=2
	s_sub_co_i32 s12, s11, 57
	s_mov_b32 s13, 0
	s_cmp_lt_i32 s12, 0x72
	global_store_b64 v4, v[2:3], s[6:7]
	s_cselect_b32 s14, -1, 0
.LBB46_212:                             ;   in Loop: Header=BB46_210 Depth=2
	s_delay_alu instid0(SALU_CYCLE_1)
	s_and_not1_b32 vcc_lo, exec_lo, s14
	s_wait_xcnt 0x0
	s_add_nc_u64 s[6:7], s[6:7], s[0:1]
	s_cbranch_vccz .LBB46_214
; %bb.213:                              ;   in Loop: Header=BB46_210 Depth=2
	s_mov_b32 s11, s12
	s_branch .LBB46_210
.LBB46_214:                             ;   in Loop: Header=BB46_209 Depth=1
	s_and_not1_b32 vcc_lo, exec_lo, s13
	s_mov_b32 s7, -1
                                        ; implicit-def: $sgpr6
	s_cbranch_vccz .LBB46_216
; %bb.215:                              ;   in Loop: Header=BB46_209 Depth=1
	s_sub_co_i32 s6, s12, 57
	s_mov_b32 s7, 0
.LBB46_216:                             ;   in Loop: Header=BB46_209 Depth=1
	s_delay_alu instid0(SALU_CYCLE_1)
	s_and_not1_b32 vcc_lo, exec_lo, s7
	s_cbranch_vccnz .LBB46_208
; %bb.217:                              ;   in Loop: Header=BB46_209 Depth=1
	s_sub_co_i32 s6, s11, 57
	s_branch .LBB46_208
.LBB46_218:
	s_cmp_lt_i32 s24, 24
	s_cbranch_scc1 .LBB46_230
; %bb.219:
	v_mov_b32_e32 v4, 0
	s_add_nc_u64 s[4:5], s[52:53], s[50:51]
	s_mov_b64 s[0:1], 0xffffffffffffff48
	s_add_nc_u64 s[4:5], s[4:5], 0xb8
	s_mov_b32 s9, 23
	s_mov_b32 s10, 46
	s_branch .LBB46_221
.LBB46_220:                             ;   in Loop: Header=BB46_221 Depth=1
	v_mov_b32_e32 v2, s6
	s_add_co_i32 s9, s9, 1
	s_add_co_i32 s10, s10, 1
	s_cmp_lg_u32 s9, s24
	s_add_nc_u64 s[4:5], s[4:5], 8
	global_store_b64 v2, v[0:1], s[36:37] scale_offset
	s_cbranch_scc0 .LBB46_230
.LBB46_221:                             ; =>This Loop Header: Depth=1
                                        ;     Child Loop BB46_222 Depth 2
	s_wait_xcnt 0x0
	v_mov_b32_e32 v0, s9
	s_mov_b64 s[6:7], s[4:5]
	s_mov_b32 s11, s10
	global_load_b64 v[0:1], v0, s[36:37] scale_offset
.LBB46_222:                             ;   Parent Loop BB46_221 Depth=1
                                        ; =>  This Inner Loop Header: Depth=2
	global_load_b64 v[2:3], v4, s[6:7] offset:-184
	s_mov_b32 s13, -1
	s_mov_b32 s14, -1
                                        ; implicit-def: $sgpr12
	s_wait_loadcnt 0x0
	v_cmp_nlt_f64_e32 vcc_lo, v[2:3], v[0:1]
	s_cbranch_vccnz .LBB46_224
; %bb.223:                              ;   in Loop: Header=BB46_222 Depth=2
	s_sub_co_i32 s12, s11, 23
	s_mov_b32 s13, 0
	s_cmp_lt_i32 s12, 46
	global_store_b64 v4, v[2:3], s[6:7]
	s_cselect_b32 s14, -1, 0
.LBB46_224:                             ;   in Loop: Header=BB46_222 Depth=2
	s_delay_alu instid0(SALU_CYCLE_1)
	s_and_not1_b32 vcc_lo, exec_lo, s14
	s_wait_xcnt 0x0
	s_add_nc_u64 s[6:7], s[6:7], s[0:1]
	s_cbranch_vccz .LBB46_226
; %bb.225:                              ;   in Loop: Header=BB46_222 Depth=2
	s_mov_b32 s11, s12
	s_branch .LBB46_222
.LBB46_226:                             ;   in Loop: Header=BB46_221 Depth=1
	s_and_not1_b32 vcc_lo, exec_lo, s13
	s_mov_b32 s7, -1
                                        ; implicit-def: $sgpr6
	s_cbranch_vccz .LBB46_228
; %bb.227:                              ;   in Loop: Header=BB46_221 Depth=1
	s_sub_co_i32 s6, s12, 23
	s_mov_b32 s7, 0
.LBB46_228:                             ;   in Loop: Header=BB46_221 Depth=1
	s_delay_alu instid0(SALU_CYCLE_1)
	s_and_not1_b32 vcc_lo, exec_lo, s7
	s_cbranch_vccnz .LBB46_220
; %bb.229:                              ;   in Loop: Header=BB46_221 Depth=1
	s_sub_co_i32 s6, s11, 23
	s_branch .LBB46_220
.LBB46_230:
	s_cmp_lt_i32 s24, 11
	s_cbranch_scc1 .LBB46_242
; %bb.231:
	v_mov_b32_e32 v4, 0
	s_add_nc_u64 s[4:5], s[52:53], s[50:51]
	s_mov_b64 s[0:1], 0xffffffffffffffb0
	s_add_nc_u64 s[4:5], s[4:5], 0x50
	s_mov_b32 s9, 10
	s_mov_b32 s10, 20
	s_branch .LBB46_233
.LBB46_232:                             ;   in Loop: Header=BB46_233 Depth=1
	v_mov_b32_e32 v2, s6
	s_add_co_i32 s9, s9, 1
	s_add_co_i32 s10, s10, 1
	s_cmp_lg_u32 s9, s24
	s_add_nc_u64 s[4:5], s[4:5], 8
	global_store_b64 v2, v[0:1], s[36:37] scale_offset
	s_cbranch_scc0 .LBB46_242
.LBB46_233:                             ; =>This Loop Header: Depth=1
                                        ;     Child Loop BB46_234 Depth 2
	s_wait_xcnt 0x0
	v_mov_b32_e32 v0, s9
	s_mov_b64 s[6:7], s[4:5]
	s_mov_b32 s11, s10
	global_load_b64 v[0:1], v0, s[36:37] scale_offset
.LBB46_234:                             ;   Parent Loop BB46_233 Depth=1
                                        ; =>  This Inner Loop Header: Depth=2
	global_load_b64 v[2:3], v4, s[6:7] offset:-80
	s_mov_b32 s13, -1
	s_mov_b32 s14, -1
                                        ; implicit-def: $sgpr12
	s_wait_loadcnt 0x0
	v_cmp_nlt_f64_e32 vcc_lo, v[2:3], v[0:1]
	s_cbranch_vccnz .LBB46_236
; %bb.235:                              ;   in Loop: Header=BB46_234 Depth=2
	s_add_co_i32 s12, s11, -10
	s_mov_b32 s13, 0
	s_cmp_lt_i32 s12, 20
	global_store_b64 v4, v[2:3], s[6:7]
	s_cselect_b32 s14, -1, 0
.LBB46_236:                             ;   in Loop: Header=BB46_234 Depth=2
	s_delay_alu instid0(SALU_CYCLE_1)
	s_and_not1_b32 vcc_lo, exec_lo, s14
	s_wait_xcnt 0x0
	s_add_nc_u64 s[6:7], s[6:7], s[0:1]
	s_cbranch_vccz .LBB46_238
; %bb.237:                              ;   in Loop: Header=BB46_234 Depth=2
	s_mov_b32 s11, s12
	s_branch .LBB46_234
.LBB46_238:                             ;   in Loop: Header=BB46_233 Depth=1
	s_and_not1_b32 vcc_lo, exec_lo, s13
	s_mov_b32 s7, -1
                                        ; implicit-def: $sgpr6
	s_cbranch_vccz .LBB46_240
; %bb.239:                              ;   in Loop: Header=BB46_233 Depth=1
	s_add_co_i32 s6, s12, -10
	s_mov_b32 s7, 0
.LBB46_240:                             ;   in Loop: Header=BB46_233 Depth=1
	s_delay_alu instid0(SALU_CYCLE_1)
	s_and_not1_b32 vcc_lo, exec_lo, s7
	s_cbranch_vccnz .LBB46_232
; %bb.241:                              ;   in Loop: Header=BB46_233 Depth=1
	s_add_co_i32 s6, s11, -10
	s_branch .LBB46_232
.LBB46_242:
	s_cmp_lt_i32 s24, 5
	s_cbranch_scc1 .LBB46_254
; %bb.243:
	v_mov_b32_e32 v4, 0
	s_add_nc_u64 s[4:5], s[52:53], s[50:51]
	s_mov_b64 s[0:1], 0xffffffffffffffe0
	s_add_nc_u64 s[4:5], s[4:5], 32
	s_mov_b32 s9, 4
	s_mov_b32 s10, 8
	s_branch .LBB46_245
.LBB46_244:                             ;   in Loop: Header=BB46_245 Depth=1
	v_mov_b32_e32 v2, s6
	s_add_co_i32 s9, s9, 1
	s_add_co_i32 s10, s10, 1
	s_cmp_lg_u32 s9, s24
	s_add_nc_u64 s[4:5], s[4:5], 8
	global_store_b64 v2, v[0:1], s[36:37] scale_offset
	s_cbranch_scc0 .LBB46_254
.LBB46_245:                             ; =>This Loop Header: Depth=1
                                        ;     Child Loop BB46_246 Depth 2
	s_wait_xcnt 0x0
	v_mov_b32_e32 v0, s9
	s_mov_b64 s[6:7], s[4:5]
	s_mov_b32 s11, s10
	global_load_b64 v[0:1], v0, s[36:37] scale_offset
.LBB46_246:                             ;   Parent Loop BB46_245 Depth=1
                                        ; =>  This Inner Loop Header: Depth=2
	global_load_b64 v[2:3], v4, s[6:7] offset:-32
	s_mov_b32 s13, -1
	s_mov_b32 s14, -1
                                        ; implicit-def: $sgpr12
	s_wait_loadcnt 0x0
	v_cmp_nlt_f64_e32 vcc_lo, v[2:3], v[0:1]
	s_cbranch_vccnz .LBB46_248
; %bb.247:                              ;   in Loop: Header=BB46_246 Depth=2
	s_add_co_i32 s12, s11, -4
	s_mov_b32 s13, 0
	s_cmp_lt_i32 s12, 8
	global_store_b64 v4, v[2:3], s[6:7]
	s_cselect_b32 s14, -1, 0
.LBB46_248:                             ;   in Loop: Header=BB46_246 Depth=2
	s_delay_alu instid0(SALU_CYCLE_1)
	s_and_not1_b32 vcc_lo, exec_lo, s14
	s_wait_xcnt 0x0
	s_add_nc_u64 s[6:7], s[6:7], s[0:1]
	s_cbranch_vccz .LBB46_250
; %bb.249:                              ;   in Loop: Header=BB46_246 Depth=2
	s_mov_b32 s11, s12
	s_branch .LBB46_246
.LBB46_250:                             ;   in Loop: Header=BB46_245 Depth=1
	s_and_not1_b32 vcc_lo, exec_lo, s13
	s_mov_b32 s7, -1
                                        ; implicit-def: $sgpr6
	s_cbranch_vccz .LBB46_252
; %bb.251:                              ;   in Loop: Header=BB46_245 Depth=1
	s_add_co_i32 s6, s12, -4
	s_mov_b32 s7, 0
.LBB46_252:                             ;   in Loop: Header=BB46_245 Depth=1
	s_delay_alu instid0(SALU_CYCLE_1)
	s_and_not1_b32 vcc_lo, exec_lo, s7
	s_cbranch_vccnz .LBB46_244
; %bb.253:                              ;   in Loop: Header=BB46_245 Depth=1
	s_add_co_i32 s6, s11, -4
	s_branch .LBB46_244
.LBB46_254:
	s_cmp_lt_i32 s24, 2
	s_mov_b32 s6, 2
	s_cbranch_scc1 .LBB46_263
; %bb.255:
	v_mov_b32_e32 v4, 0
	s_add_nc_u64 s[0:1], s[52:53], s[50:51]
	s_mov_b32 s7, 1
	s_add_nc_u64 s[0:1], s[0:1], 8
	s_branch .LBB46_257
.LBB46_256:                             ;   in Loop: Header=BB46_257 Depth=1
	v_mov_b32_e32 v2, s4
	s_add_co_i32 s7, s7, 1
	s_add_co_i32 s6, s6, 1
	s_cmp_eq_u32 s7, s24
	s_add_nc_u64 s[0:1], s[0:1], 8
	global_store_b64 v2, v[0:1], s[36:37] scale_offset
	s_cbranch_scc1 .LBB46_263
.LBB46_257:                             ; =>This Loop Header: Depth=1
                                        ;     Child Loop BB46_259 Depth 2
	s_wait_xcnt 0x0
	v_mov_b32_e32 v0, s7
	s_mov_b64 s[4:5], s[0:1]
	s_mov_b32 s10, s6
	global_load_b64 v[0:1], v0, s[36:37] scale_offset
	s_branch .LBB46_259
.LBB46_258:                             ;   in Loop: Header=BB46_259 Depth=2
	s_and_not1_b32 vcc_lo, exec_lo, s12
	s_wait_xcnt 0x0
	s_add_nc_u64 s[4:5], s[4:5], -8
	s_cbranch_vccz .LBB46_261
.LBB46_259:                             ;   Parent Loop BB46_257 Depth=1
                                        ; =>  This Inner Loop Header: Depth=2
	global_load_b64 v[2:3], v4, s[4:5] offset:-8
	s_mov_b32 s9, s10
	s_mov_b32 s11, -1
	s_mov_b32 s12, -1
                                        ; implicit-def: $sgpr10
	s_wait_loadcnt 0x0
	v_cmp_nlt_f64_e32 vcc_lo, v[2:3], v[0:1]
	s_cbranch_vccnz .LBB46_258
; %bb.260:                              ;   in Loop: Header=BB46_259 Depth=2
	s_add_co_i32 s10, s9, -1
	s_mov_b32 s11, 0
	s_cmp_lt_i32 s10, 2
	global_store_b64 v4, v[2:3], s[4:5]
	s_cselect_b32 s12, -1, 0
	s_branch .LBB46_258
.LBB46_261:                             ;   in Loop: Header=BB46_257 Depth=1
	s_and_b32 vcc_lo, exec_lo, s11
	s_mov_b32 s4, 0
	s_cbranch_vccz .LBB46_256
; %bb.262:                              ;   in Loop: Header=BB46_257 Depth=1
	s_add_co_i32 s4, s9, -1
	s_branch .LBB46_256
.LBB46_263:
	s_wait_xcnt 0x0
	s_or_b32 exec_lo, exec_lo, s8
	s_cmp_lt_i32 s24, 2
	s_mov_b32 s56, 0
	s_cselect_b32 s5, -1, 0
	s_wait_storecnt 0x0
	s_and_b32 vcc_lo, exec_lo, s5
	s_barrier_signal -1
	s_barrier_wait -1
	s_cbranch_vccnz .LBB46_271
; %bb.264:
	s_add_co_i32 s4, s24, -1
	s_mov_b32 s5, -1
	s_mov_b32 s0, 0
	s_mov_b32 s1, exec_lo
	v_cmpx_gt_u32_e64 s4, v41
	s_cbranch_execz .LBB46_273
; %bb.265:
	v_dual_mov_b32 v1, 0 :: v_dual_mov_b32 v0, v41
	s_mov_b32 s5, 0
                                        ; implicit-def: $sgpr6
	s_branch .LBB46_267
.LBB46_266:                             ;   in Loop: Header=BB46_267 Depth=1
	s_or_b32 exec_lo, exec_lo, s9
	s_xor_b32 s7, s8, -1
	s_and_b32 s0, exec_lo, s0
	s_delay_alu instid0(SALU_CYCLE_1) | instskip(SKIP_2) | instid1(SALU_CYCLE_1)
	s_or_b32 s5, s0, s5
	s_and_not1_b32 s0, s6, exec_lo
	s_and_b32 s6, s7, exec_lo
	s_or_b32 s6, s0, s6
	s_and_not1_b32 exec_lo, exec_lo, s5
	s_cbranch_execz .LBB46_272
.LBB46_267:                             ; =>This Inner Loop Header: Depth=1
	global_load_b64 v[2:3], v0, s[36:37] scale_offset
	s_mov_b32 s8, exec_lo
	s_wait_loadcnt 0x0
	v_cmp_u_f64_e64 s7, v[2:3], v[2:3]
	v_cmpx_o_f64_e32 v[2:3], v[2:3]
	s_cbranch_execz .LBB46_269
; %bb.268:                              ;   in Loop: Header=BB46_267 Depth=1
	v_lshl_add_u64 v[4:5], v[0:1], 3, s[36:37]
	s_and_not1_b32 s7, s7, exec_lo
	global_load_b64 v[4:5], v[4:5], off offset:8
	s_wait_loadcnt 0x0
	v_cmp_u_f64_e32 vcc_lo, v[4:5], v[4:5]
	v_cmp_ge_f64_e64 s0, v[2:3], v[4:5]
	s_or_b32 s0, vcc_lo, s0
	s_delay_alu instid0(SALU_CYCLE_1) | instskip(NEXT) | instid1(SALU_CYCLE_1)
	s_and_b32 s0, s0, exec_lo
	s_or_b32 s7, s7, s0
.LBB46_269:                             ;   in Loop: Header=BB46_267 Depth=1
	s_or_b32 exec_lo, exec_lo, s8
	s_mov_b32 s0, -1
	s_mov_b32 s8, -1
	s_and_saveexec_b32 s9, s7
	s_cbranch_execz .LBB46_266
; %bb.270:                              ;   in Loop: Header=BB46_267 Depth=1
	v_add_nc_u32_e32 v0, s46, v0
	s_xor_b32 s8, exec_lo, -1
	s_delay_alu instid0(VALU_DEP_1)
	v_cmp_le_u32_e32 vcc_lo, s4, v0
	s_or_not1_b32 s0, vcc_lo, exec_lo
	s_branch .LBB46_266
.LBB46_271:
	s_mov_b32 s0, 0
	s_branch .LBB46_274
.LBB46_272:
	s_or_b32 exec_lo, exec_lo, s5
	s_delay_alu instid0(SALU_CYCLE_1)
	s_mov_b32 s0, exec_lo
	s_or_not1_b32 s5, s6, exec_lo
.LBB46_273:
	s_or_b32 exec_lo, exec_lo, s1
.LBB46_274:
	s_and_saveexec_b32 s1, s5
	s_cbranch_execz .LBB46_276
; %bb.275:
	s_mov_b32 s56, exec_lo
	s_barrier_signal -1
	s_barrier_wait -1
	s_and_not1_b32 s0, s0, exec_lo
.LBB46_276:
	s_or_b32 exec_lo, exec_lo, s1
	s_and_saveexec_b32 s40, s0
	s_cbranch_execz .LBB46_278
; %bb.277:
	s_get_pc_i64 s[0:1]
	s_add_nc_u64 s[0:1], s[0:1], __PRETTY_FUNCTION__._ZN9rocsolver6v33100L21shell_sort_descendingIdiEEvT0_PT_PS2_@rel64+4
	s_add_nc_u64 s[8:9], s[2:3], 0x90
	v_dual_mov_b32 v0, s0 :: v_dual_mov_b32 v1, s1
	s_get_pc_i64 s[2:3]
	s_add_nc_u64 s[2:3], s[2:3], __assert_fail@rel64+4
	s_delay_alu instid0(SALU_CYCLE_1)
	s_swap_pc_i64 s[30:31], s[2:3]
	s_or_b32 s54, s54, exec_lo
.LBB46_278:
	s_or_b32 exec_lo, exec_lo, s40
.LBB46_279:
	s_and_saveexec_b32 s0, s54
; %bb.280:
	; divergent unreachable
; %bb.281:
	s_delay_alu instid0(SALU_CYCLE_1)
	s_or_b32 exec_lo, exec_lo, s0
	s_and_saveexec_b32 s0, s56
	s_cbranch_execz .LBB46_283
; %bb.282:
	s_wait_storecnt 0x0
	s_barrier_signal -1
	s_barrier_wait -1
.LBB46_283:
	s_or_b32 exec_lo, exec_lo, s0
	s_cbranch_execnz .LBB46_307
.LBB46_284:
	s_cmp_lt_i32 s24, 2
	s_cbranch_scc1 .LBB46_307
; %bb.285:
	v_mul_lo_u32 v5, s47, v41
	v_mul_lo_u32 v6, s49, v41
	v_dual_mov_b32 v7, 0 :: v_dual_lshlrev_b32 v0, 4, v42
	s_cmp_lg_u32 s25, 0
	v_cmp_eq_u32_e64 s0, 0, v41
	s_cselect_b32 s12, -1, 0
	s_cmp_lg_u32 s26, 0
	v_add_nc_u32_e32 v2, 0x14000, v0
	v_add_nc_u32_e32 v3, 0x10000, v0
	;; [unrolled: 1-line block ×3, first 2 shown]
	v_cmp_gt_i32_e64 s1, s25, v41
	v_cmp_gt_i32_e64 s2, s26, v41
	;; [unrolled: 1-line block ×3, first 2 shown]
	s_cselect_b32 s13, -1, 0
	s_cmp_lg_u32 s27, 0
	s_add_nc_u64 s[6:7], s[52:53], s[50:51]
	s_mov_b32 s5, 0
	s_cselect_b32 s14, -1, 0
	s_add_co_i32 s15, s24, -2
	s_add_nc_u64 s[6:7], s[6:7], 8
	s_mul_i32 s16, s47, s21
	s_mul_i32 s17, s49, s21
	s_mov_b32 s18, 0
	s_mov_b32 s19, 0
	s_branch .LBB46_288
.LBB46_286:                             ;   in Loop: Header=BB46_288 Depth=1
	s_or_b32 exec_lo, exec_lo, s8
	s_wait_storecnt_dscnt 0x0
	s_barrier_signal -1
	s_barrier_wait -1
.LBB46_287:                             ;   in Loop: Header=BB46_288 Depth=1
	s_add_co_i32 s18, s18, s43
	s_cmp_eq_u32 s4, s15
	s_add_nc_u64 s[6:7], s[6:7], 8
	s_cbranch_scc1 .LBB46_307
.LBB46_288:                             ; =>This Loop Header: Depth=1
                                        ;     Child Loop BB46_289 Depth 2
                                        ;     Child Loop BB46_296 Depth 2
	;; [unrolled: 1-line block ×4, first 2 shown]
	v_mov_b32_e32 v0, s19
	s_mov_b32 s4, s19
	s_add_co_i32 s19, s19, 1
	s_lshl_b64 s[8:9], s[4:5], 3
	s_mov_b64 s[10:11], s[6:7]
	global_load_b64 v[0:1], v0, s[36:37] scale_offset
	s_add_nc_u64 s[8:9], s[36:37], s[8:9]
	s_mov_b32 s30, s19
	s_mov_b32 s20, s4
.LBB46_289:                             ;   Parent Loop BB46_288 Depth=1
                                        ; =>  This Inner Loop Header: Depth=2
	global_load_b64 v[8:9], v7, s[10:11]
	s_wait_xcnt 0x0
	s_add_nc_u64 s[10:11], s[10:11], 8
	s_wait_loadcnt 0x0
	v_cmp_gt_f64_e32 vcc_lo, v[8:9], v[0:1]
	v_dual_cndmask_b32 v1, v1, v9 :: v_dual_cndmask_b32 v0, v0, v8
	s_and_b32 s31, vcc_lo, exec_lo
	s_cselect_b32 s20, s30, s20
	s_add_co_i32 s30, s30, 1
	s_delay_alu instid0(SALU_CYCLE_1)
	s_cmp_lg_u32 s24, s30
	s_cbranch_scc1 .LBB46_289
; %bb.290:                              ;   in Loop: Header=BB46_288 Depth=1
	s_cmp_eq_u32 s20, s4
	s_wait_storecnt 0x0
	s_barrier_signal -1
	s_barrier_wait -1
	s_cbranch_scc1 .LBB46_287
; %bb.291:                              ;   in Loop: Header=BB46_288 Depth=1
	s_and_saveexec_b32 s10, s0
	s_cbranch_execz .LBB46_293
; %bb.292:                              ;   in Loop: Header=BB46_288 Depth=1
	global_load_b64 v[8:9], v7, s[8:9]
	v_mov_b32_e32 v10, s20
	s_wait_loadcnt 0x0
	s_clause 0x1
	global_store_b64 v10, v[8:9], s[36:37] scale_offset
	global_store_b64 v7, v[0:1], s[8:9]
.LBB46_293:                             ;   in Loop: Header=BB46_288 Depth=1
	s_wait_xcnt 0x0
	s_or_b32 exec_lo, exec_lo, s10
	s_delay_alu instid0(SALU_CYCLE_1)
	s_and_not1_b32 vcc_lo, exec_lo, s12
	s_cbranch_vccnz .LBB46_298
; %bb.294:                              ;   in Loop: Header=BB46_288 Depth=1
	s_and_saveexec_b32 s8, s1
	s_cbranch_execz .LBB46_297
; %bb.295:                              ;   in Loop: Header=BB46_288 Depth=1
	v_dual_mov_b32 v0, v5 :: v_dual_mov_b32 v1, v41
	s_mov_b32 s9, 0
.LBB46_296:                             ;   Parent Loop BB46_288 Depth=1
                                        ; =>  This Inner Loop Header: Depth=2
	s_delay_alu instid0(VALU_DEP_1) | instskip(NEXT) | instid1(VALU_DEP_2)
	v_dual_add_nc_u32 v16, s20, v0 :: v_dual_add_nc_u32 v17, s4, v0
	v_dual_add_nc_u32 v1, s21, v1 :: v_dual_add_nc_u32 v0, s16, v0
	s_clause 0x1
	global_load_b128 v[8:11], v16, s[34:35] scale_offset
	global_load_b128 v[12:15], v17, s[34:35] scale_offset
	v_cmp_le_i32_e32 vcc_lo, s25, v1
	s_or_b32 s9, vcc_lo, s9
	s_wait_loadcnt 0x1
	ds_store_2addr_b64 v4, v[8:9], v[10:11] offset1:1
	s_wait_loadcnt 0x0
	s_clause 0x1
	global_store_b128 v16, v[12:15], s[34:35] scale_offset
	global_store_b128 v17, v[8:11], s[34:35] scale_offset
	s_wait_xcnt 0x0
	s_and_not1_b32 exec_lo, exec_lo, s9
	s_cbranch_execnz .LBB46_296
.LBB46_297:                             ;   in Loop: Header=BB46_288 Depth=1
	s_or_b32 exec_lo, exec_lo, s8
	s_wait_storecnt_dscnt 0x0
	s_barrier_signal -1
	s_barrier_wait -1
.LBB46_298:                             ;   in Loop: Header=BB46_288 Depth=1
	s_and_not1_b32 vcc_lo, exec_lo, s13
	s_cbranch_vccnz .LBB46_303
; %bb.299:                              ;   in Loop: Header=BB46_288 Depth=1
	s_and_saveexec_b32 s8, s2
	s_cbranch_execz .LBB46_302
; %bb.300:                              ;   in Loop: Header=BB46_288 Depth=1
	v_mov_b32_e32 v0, v41
	s_mul_i32 s9, s20, s43
	s_mov_b32 s10, 0
.LBB46_301:                             ;   Parent Loop BB46_288 Depth=1
                                        ; =>  This Inner Loop Header: Depth=2
	s_delay_alu instid0(VALU_DEP_1)
	v_dual_add_nc_u32 v1, s9, v0 :: v_dual_add_nc_u32 v16, s18, v0
	v_add_nc_u32_e32 v0, s21, v0
	s_clause 0x1
	global_load_b128 v[8:11], v1, s[28:29] scale_offset
	global_load_b128 v[12:15], v16, s[28:29] scale_offset
	v_cmp_le_i32_e32 vcc_lo, s26, v0
	s_or_b32 s10, vcc_lo, s10
	s_wait_loadcnt 0x1
	ds_store_2addr_b64 v3, v[8:9], v[10:11] offset1:1
	s_wait_loadcnt 0x0
	s_clause 0x1
	global_store_b128 v1, v[12:15], s[28:29] scale_offset
	global_store_b128 v16, v[8:11], s[28:29] scale_offset
	s_wait_xcnt 0x0
	s_and_not1_b32 exec_lo, exec_lo, s10
	s_cbranch_execnz .LBB46_301
.LBB46_302:                             ;   in Loop: Header=BB46_288 Depth=1
	s_or_b32 exec_lo, exec_lo, s8
	s_wait_storecnt_dscnt 0x0
	s_barrier_signal -1
	s_barrier_wait -1
.LBB46_303:                             ;   in Loop: Header=BB46_288 Depth=1
	s_and_not1_b32 vcc_lo, exec_lo, s14
	s_cbranch_vccnz .LBB46_287
; %bb.304:                              ;   in Loop: Header=BB46_288 Depth=1
	s_and_saveexec_b32 s8, s3
	s_cbranch_execz .LBB46_286
; %bb.305:                              ;   in Loop: Header=BB46_288 Depth=1
	v_dual_mov_b32 v0, v6 :: v_dual_mov_b32 v1, v41
	s_mov_b32 s9, 0
.LBB46_306:                             ;   Parent Loop BB46_288 Depth=1
                                        ; =>  This Inner Loop Header: Depth=2
	s_delay_alu instid0(VALU_DEP_1) | instskip(NEXT) | instid1(VALU_DEP_2)
	v_dual_add_nc_u32 v16, s20, v0 :: v_dual_add_nc_u32 v17, s4, v0
	v_dual_add_nc_u32 v1, s21, v1 :: v_dual_add_nc_u32 v0, s17, v0
	s_clause 0x1
	global_load_b128 v[8:11], v16, s[44:45] scale_offset
	global_load_b128 v[12:15], v17, s[44:45] scale_offset
	v_cmp_le_i32_e32 vcc_lo, s27, v1
	s_or_b32 s9, vcc_lo, s9
	s_wait_loadcnt 0x1
	ds_store_2addr_b64 v2, v[8:9], v[10:11] offset1:1
	s_wait_loadcnt 0x0
	s_clause 0x1
	global_store_b128 v16, v[12:15], s[44:45] scale_offset
	global_store_b128 v17, v[8:11], s[44:45] scale_offset
	s_wait_xcnt 0x0
	s_and_not1_b32 exec_lo, exec_lo, s9
	s_cbranch_execnz .LBB46_306
	s_branch .LBB46_286
.LBB46_307:
	s_mov_b32 s4, 0
.LBB46_308:
	s_delay_alu instid0(SALU_CYCLE_1)
	s_and_not1_b32 vcc_lo, exec_lo, s4
	s_cbranch_vccnz .LBB46_311
; %bb.309:
	s_mov_b32 s0, exec_lo
	s_wait_xcnt 0x0
	v_cmpx_eq_u32_e32 0, v41
	s_cbranch_execz .LBB46_311
; %bb.310:
	v_dual_mov_b32 v0, 0 :: v_dual_mov_b32 v1, s42
	s_add_nc_u64 s[0:1], s[38:39], s[22:23]
	global_store_b32 v0, v1, s[0:1]
.LBB46_311:
	s_endpgm
	.section	.rodata,"a",@progbits
	.p2align	6, 0x0
	.amdhsa_kernel _ZN9rocsolver6v33100L14bdsqr_finalizeI19rocblas_complex_numIdEdPS3_S4_S4_EEviiiiPT0_lS6_lT1_iilT2_iilT3_iilPiSA_SA_
		.amdhsa_group_segment_fixed_size 98304
		.amdhsa_private_segment_fixed_size 64
		.amdhsa_kernarg_size 400
		.amdhsa_user_sgpr_count 4
		.amdhsa_user_sgpr_dispatch_ptr 1
		.amdhsa_user_sgpr_queue_ptr 0
		.amdhsa_user_sgpr_kernarg_segment_ptr 1
		.amdhsa_user_sgpr_dispatch_id 0
		.amdhsa_user_sgpr_kernarg_preload_length 0
		.amdhsa_user_sgpr_kernarg_preload_offset 0
		.amdhsa_user_sgpr_private_segment_size 0
		.amdhsa_wavefront_size32 1
		.amdhsa_uses_dynamic_stack 0
		.amdhsa_enable_private_segment 1
		.amdhsa_system_sgpr_workgroup_id_x 1
		.amdhsa_system_sgpr_workgroup_id_y 1
		.amdhsa_system_sgpr_workgroup_id_z 0
		.amdhsa_system_sgpr_workgroup_info 0
		.amdhsa_system_vgpr_workitem_id 2
		.amdhsa_next_free_vgpr 49
		.amdhsa_next_free_sgpr 60
		.amdhsa_named_barrier_count 0
		.amdhsa_reserve_vcc 1
		.amdhsa_float_round_mode_32 0
		.amdhsa_float_round_mode_16_64 0
		.amdhsa_float_denorm_mode_32 3
		.amdhsa_float_denorm_mode_16_64 3
		.amdhsa_fp16_overflow 0
		.amdhsa_memory_ordered 1
		.amdhsa_forward_progress 1
		.amdhsa_inst_pref_size 65
		.amdhsa_round_robin_scheduling 0
		.amdhsa_exception_fp_ieee_invalid_op 0
		.amdhsa_exception_fp_denorm_src 0
		.amdhsa_exception_fp_ieee_div_zero 0
		.amdhsa_exception_fp_ieee_overflow 0
		.amdhsa_exception_fp_ieee_underflow 0
		.amdhsa_exception_fp_ieee_inexact 0
		.amdhsa_exception_int_div_zero 0
	.end_amdhsa_kernel
	.section	.text._ZN9rocsolver6v33100L14bdsqr_finalizeI19rocblas_complex_numIdEdPS3_S4_S4_EEviiiiPT0_lS6_lT1_iilT2_iilT3_iilPiSA_SA_,"axG",@progbits,_ZN9rocsolver6v33100L14bdsqr_finalizeI19rocblas_complex_numIdEdPS3_S4_S4_EEviiiiPT0_lS6_lT1_iilT2_iilT3_iilPiSA_SA_,comdat
.Lfunc_end46:
	.size	_ZN9rocsolver6v33100L14bdsqr_finalizeI19rocblas_complex_numIdEdPS3_S4_S4_EEviiiiPT0_lS6_lT1_iilT2_iilT3_iilPiSA_SA_, .Lfunc_end46-_ZN9rocsolver6v33100L14bdsqr_finalizeI19rocblas_complex_numIdEdPS3_S4_S4_EEviiiiPT0_lS6_lT1_iilT2_iilT3_iilPiSA_SA_
                                        ; -- End function
	.set _ZN9rocsolver6v33100L14bdsqr_finalizeI19rocblas_complex_numIdEdPS3_S4_S4_EEviiiiPT0_lS6_lT1_iilT2_iilT3_iilPiSA_SA_.num_vgpr, max(46, .L__assert_fail.num_vgpr)
	.set _ZN9rocsolver6v33100L14bdsqr_finalizeI19rocblas_complex_numIdEdPS3_S4_S4_EEviiiiPT0_lS6_lT1_iilT2_iilT3_iilPiSA_SA_.num_agpr, max(0, .L__assert_fail.num_agpr)
	.set _ZN9rocsolver6v33100L14bdsqr_finalizeI19rocblas_complex_numIdEdPS3_S4_S4_EEviiiiPT0_lS6_lT1_iilT2_iilT3_iilPiSA_SA_.numbered_sgpr, max(60, .L__assert_fail.numbered_sgpr)
	.set _ZN9rocsolver6v33100L14bdsqr_finalizeI19rocblas_complex_numIdEdPS3_S4_S4_EEviiiiPT0_lS6_lT1_iilT2_iilT3_iilPiSA_SA_.num_named_barrier, max(0, .L__assert_fail.num_named_barrier)
	.set _ZN9rocsolver6v33100L14bdsqr_finalizeI19rocblas_complex_numIdEdPS3_S4_S4_EEviiiiPT0_lS6_lT1_iilT2_iilT3_iilPiSA_SA_.private_seg_size, 0+max(.L__assert_fail.private_seg_size)
	.set _ZN9rocsolver6v33100L14bdsqr_finalizeI19rocblas_complex_numIdEdPS3_S4_S4_EEviiiiPT0_lS6_lT1_iilT2_iilT3_iilPiSA_SA_.uses_vcc, or(1, .L__assert_fail.uses_vcc)
	.set _ZN9rocsolver6v33100L14bdsqr_finalizeI19rocblas_complex_numIdEdPS3_S4_S4_EEviiiiPT0_lS6_lT1_iilT2_iilT3_iilPiSA_SA_.uses_flat_scratch, or(0, .L__assert_fail.uses_flat_scratch)
	.set _ZN9rocsolver6v33100L14bdsqr_finalizeI19rocblas_complex_numIdEdPS3_S4_S4_EEviiiiPT0_lS6_lT1_iilT2_iilT3_iilPiSA_SA_.has_dyn_sized_stack, or(0, .L__assert_fail.has_dyn_sized_stack)
	.set _ZN9rocsolver6v33100L14bdsqr_finalizeI19rocblas_complex_numIdEdPS3_S4_S4_EEviiiiPT0_lS6_lT1_iilT2_iilT3_iilPiSA_SA_.has_recursion, or(0, .L__assert_fail.has_recursion)
	.set _ZN9rocsolver6v33100L14bdsqr_finalizeI19rocblas_complex_numIdEdPS3_S4_S4_EEviiiiPT0_lS6_lT1_iilT2_iilT3_iilPiSA_SA_.has_indirect_call, or(0, .L__assert_fail.has_indirect_call)
	.section	.AMDGPU.csdata,"",@progbits
; Kernel info:
; codeLenInByte = 8280
; TotalNumSgprs: 62
; NumVgprs: 49
; ScratchSize: 64
; MemoryBound: 0
; FloatMode: 240
; IeeeMode: 1
; LDSByteSize: 98304 bytes/workgroup (compile time only)
; SGPRBlocks: 0
; VGPRBlocks: 3
; NumSGPRsForWavesPerEU: 62
; NumVGPRsForWavesPerEU: 49
; NamedBarCnt: 0
; Occupancy: 16
; WaveLimiterHint : 1
; COMPUTE_PGM_RSRC2:SCRATCH_EN: 1
; COMPUTE_PGM_RSRC2:USER_SGPR: 4
; COMPUTE_PGM_RSRC2:TRAP_HANDLER: 0
; COMPUTE_PGM_RSRC2:TGID_X_EN: 1
; COMPUTE_PGM_RSRC2:TGID_Y_EN: 1
; COMPUTE_PGM_RSRC2:TGID_Z_EN: 0
; COMPUTE_PGM_RSRC2:TIDIG_COMP_CNT: 2
	.text
	.p2alignl 7, 3214868480
	.fill 96, 4, 3214868480
	.section	.AMDGPU.gpr_maximums,"",@progbits
	.set amdgpu.max_num_vgpr, 49
	.set amdgpu.max_num_agpr, 0
	.set amdgpu.max_num_sgpr, 34
	.text
	.type	__const.__assert_fail.fmt,@object ; @__const.__assert_fail.fmt
	.section	.rodata.str1.16,"aMS",@progbits,1
	.p2align	4, 0x0
__const.__assert_fail.fmt:
	.asciz	"%s:%u: %s: Device-side assertion `%s' failed.\n"
	.size	__const.__assert_fail.fmt, 47

	.type	.str.5,@object                  ; @.str.5
	.section	.rodata.str1.1,"aMS",@progbits,1
.str.5:
	.asciz	"std::isnan(a[k]) || std::isnan(a[k + 1]) || a[k] >= a[k + 1]"
	.size	.str.5, 61

	.type	.str.6,@object                  ; @.str.6
.str.6:
	.asciz	"/root/src/amdgpu-assembly/repos/ROCm__rocSOLVER/library/src/include/lib_device_helpers.hpp"
	.size	.str.6, 91

	.type	__PRETTY_FUNCTION__._ZN9rocsolver6v33100L21shell_sort_descendingIfiEEvT0_PT_PS2_,@object ; @__PRETTY_FUNCTION__._ZN9rocsolver6v33100L21shell_sort_descendingIfiEEvT0_PT_PS2_
__PRETTY_FUNCTION__._ZN9rocsolver6v33100L21shell_sort_descendingIfiEEvT0_PT_PS2_:
	.asciz	"void rocsolver::shell_sort_descending(const I, S *, I *) [S = float, I = int]"
	.size	__PRETTY_FUNCTION__._ZN9rocsolver6v33100L21shell_sort_descendingIfiEEvT0_PT_PS2_, 78

	.type	__PRETTY_FUNCTION__._ZN9rocsolver6v33100L21shell_sort_descendingIdiEEvT0_PT_PS2_,@object ; @__PRETTY_FUNCTION__._ZN9rocsolver6v33100L21shell_sort_descendingIdiEEvT0_PT_PS2_
__PRETTY_FUNCTION__._ZN9rocsolver6v33100L21shell_sort_descendingIdiEEvT0_PT_PS2_:
	.asciz	"void rocsolver::shell_sort_descending(const I, S *, I *) [S = double, I = int]"
	.size	__PRETTY_FUNCTION__._ZN9rocsolver6v33100L21shell_sort_descendingIdiEEvT0_PT_PS2_, 79

	.type	__hip_cuid_3b366534d467075c,@object ; @__hip_cuid_3b366534d467075c
	.section	.bss,"aw",@nobits
	.globl	__hip_cuid_3b366534d467075c
__hip_cuid_3b366534d467075c:
	.byte	0                               ; 0x0
	.size	__hip_cuid_3b366534d467075c, 1

	.ident	"AMD clang version 22.0.0git (https://github.com/RadeonOpenCompute/llvm-project roc-7.2.4 26084 f58b06dce1f9c15707c5f808fd002e18c2accf7e)"
	.section	".note.GNU-stack","",@progbits
	.addrsig
	.addrsig_sym __hip_cuid_3b366534d467075c
	.amdgpu_metadata
---
amdhsa.kernels:
  - .args:
      - .address_space:  global
        .offset:         0
        .size:           8
        .value_kind:     global_buffer
      - .offset:         8
        .size:           4
        .value_kind:     by_value
      - .offset:         12
        .size:           4
        .value_kind:     by_value
      - .offset:         16
        .size:           4
        .value_kind:     by_value
      - .offset:         24
        .size:           4
        .value_kind:     hidden_block_count_x
      - .offset:         28
        .size:           4
        .value_kind:     hidden_block_count_y
      - .offset:         32
        .size:           4
        .value_kind:     hidden_block_count_z
      - .offset:         36
        .size:           2
        .value_kind:     hidden_group_size_x
      - .offset:         38
        .size:           2
        .value_kind:     hidden_group_size_y
      - .offset:         40
        .size:           2
        .value_kind:     hidden_group_size_z
      - .offset:         42
        .size:           2
        .value_kind:     hidden_remainder_x
      - .offset:         44
        .size:           2
        .value_kind:     hidden_remainder_y
      - .offset:         46
        .size:           2
        .value_kind:     hidden_remainder_z
      - .offset:         64
        .size:           8
        .value_kind:     hidden_global_offset_x
      - .offset:         72
        .size:           8
        .value_kind:     hidden_global_offset_y
      - .offset:         80
        .size:           8
        .value_kind:     hidden_global_offset_z
      - .offset:         88
        .size:           2
        .value_kind:     hidden_grid_dims
    .group_segment_fixed_size: 0
    .kernarg_segment_align: 8
    .kernarg_segment_size: 280
    .language:       OpenCL C
    .language_version:
      - 2
      - 0
    .max_flat_workgroup_size: 1024
    .name:           _ZN9rocsolver6v33100L10reset_infoIiiiEEvPT_T0_T1_S4_
    .private_segment_fixed_size: 0
    .sgpr_count:     9
    .sgpr_spill_count: 0
    .symbol:         _ZN9rocsolver6v33100L10reset_infoIiiiEEvPT_T0_T1_S4_.kd
    .uniform_work_group_size: 1
    .uses_dynamic_stack: false
    .vgpr_count:     2
    .vgpr_spill_count: 0
    .wavefront_size: 32
  - .args:
      - .offset:         0
        .size:           4
        .value_kind:     by_value
      - .address_space:  global
        .offset:         8
        .size:           8
        .value_kind:     global_buffer
      - .offset:         16
        .size:           8
        .value_kind:     by_value
      - .address_space:  global
        .offset:         24
        .size:           8
        .value_kind:     global_buffer
      - .offset:         32
        .size:           8
        .value_kind:     by_value
      - .address_space:  global
        .offset:         40
        .size:           8
        .value_kind:     global_buffer
      - .offset:         48
        .size:           4
        .value_kind:     by_value
      - .offset:         52
        .size:           4
        .value_kind:     by_value
      - .offset:         56
        .size:           4
        .value_kind:     by_value
      - .address_space:  global
        .offset:         64
        .size:           8
        .value_kind:     global_buffer
      - .address_space:  global
        .offset:         72
        .size:           8
        .value_kind:     global_buffer
      - .offset:         80
        .size:           8
        .value_kind:     by_value
      - .address_space:  global
        .offset:         88
        .size:           8
        .value_kind:     global_buffer
    .group_segment_fixed_size: 0
    .kernarg_segment_align: 8
    .kernarg_segment_size: 96
    .language:       OpenCL C
    .language_version:
      - 2
      - 0
    .max_flat_workgroup_size: 1024
    .name:           _ZN9rocsolver6v33100L10bdsqr_initIffEEviPT0_lS3_lPiiS2_S2_S4_S3_lS4_
    .private_segment_fixed_size: 0
    .sgpr_count:     38
    .sgpr_spill_count: 0
    .symbol:         _ZN9rocsolver6v33100L10bdsqr_initIffEEviPT0_lS3_lPiiS2_S2_S4_S3_lS4_.kd
    .uniform_work_group_size: 1
    .uses_dynamic_stack: false
    .vgpr_count:     10
    .vgpr_spill_count: 0
    .wavefront_size: 32
  - .args:
      - .offset:         0
        .size:           4
        .value_kind:     by_value
      - .address_space:  global
        .offset:         8
        .size:           8
        .value_kind:     global_buffer
      - .offset:         16
        .size:           4
        .value_kind:     by_value
      - .address_space:  global
        .offset:         24
        .size:           8
        .value_kind:     global_buffer
      - .offset:         32
        .size:           4
        .value_kind:     by_value
      - .offset:         40
        .size:           4
        .value_kind:     hidden_block_count_x
      - .offset:         44
        .size:           4
        .value_kind:     hidden_block_count_y
      - .offset:         48
        .size:           4
        .value_kind:     hidden_block_count_z
      - .offset:         52
        .size:           2
        .value_kind:     hidden_group_size_x
      - .offset:         54
        .size:           2
        .value_kind:     hidden_group_size_y
      - .offset:         56
        .size:           2
        .value_kind:     hidden_group_size_z
      - .offset:         58
        .size:           2
        .value_kind:     hidden_remainder_x
      - .offset:         60
        .size:           2
        .value_kind:     hidden_remainder_y
      - .offset:         62
        .size:           2
        .value_kind:     hidden_remainder_z
      - .offset:         80
        .size:           8
        .value_kind:     hidden_global_offset_x
      - .offset:         88
        .size:           8
        .value_kind:     hidden_global_offset_y
      - .offset:         96
        .size:           8
        .value_kind:     hidden_global_offset_z
      - .offset:         104
        .size:           2
        .value_kind:     hidden_grid_dims
    .group_segment_fixed_size: 0
    .kernarg_segment_align: 8
    .kernarg_segment_size: 296
    .language:       OpenCL C
    .language_version:
      - 2
      - 0
    .max_flat_workgroup_size: 1024
    .name:           _ZN9rocsolver6v33100L11swap_kernelIfiEEvT0_PT_S2_S4_S2_
    .private_segment_fixed_size: 0
    .sgpr_count:     18
    .sgpr_spill_count: 0
    .symbol:         _ZN9rocsolver6v33100L11swap_kernelIfiEEvT0_PT_S2_S4_S2_.kd
    .uniform_work_group_size: 1
    .uses_dynamic_stack: false
    .vgpr_count:     9
    .vgpr_spill_count: 0
    .wavefront_size: 32
  - .args:
      - .offset:         0
        .size:           4
        .value_kind:     by_value
      - .address_space:  global
        .offset:         8
        .size:           8
        .value_kind:     global_buffer
      - .offset:         16
        .size:           4
        .value_kind:     by_value
      - .address_space:  global
        .offset:         24
        .size:           8
        .value_kind:     global_buffer
      - .offset:         32
        .size:           4
        .value_kind:     by_value
      - .offset:         36
        .size:           4
        .value_kind:     by_value
      - .offset:         40
        .size:           4
        .value_kind:     by_value
      - .offset:         48
        .size:           4
        .value_kind:     hidden_block_count_x
      - .offset:         52
        .size:           4
        .value_kind:     hidden_block_count_y
      - .offset:         56
        .size:           4
        .value_kind:     hidden_block_count_z
      - .offset:         60
        .size:           2
        .value_kind:     hidden_group_size_x
      - .offset:         62
        .size:           2
        .value_kind:     hidden_group_size_y
      - .offset:         64
        .size:           2
        .value_kind:     hidden_group_size_z
      - .offset:         66
        .size:           2
        .value_kind:     hidden_remainder_x
      - .offset:         68
        .size:           2
        .value_kind:     hidden_remainder_y
      - .offset:         70
        .size:           2
        .value_kind:     hidden_remainder_z
      - .offset:         88
        .size:           8
        .value_kind:     hidden_global_offset_x
      - .offset:         96
        .size:           8
        .value_kind:     hidden_global_offset_y
      - .offset:         104
        .size:           8
        .value_kind:     hidden_global_offset_z
      - .offset:         112
        .size:           2
        .value_kind:     hidden_grid_dims
    .group_segment_fixed_size: 0
    .kernarg_segment_align: 8
    .kernarg_segment_size: 304
    .language:       OpenCL C
    .language_version:
      - 2
      - 0
    .max_flat_workgroup_size: 1024
    .name:           _ZN9rocsolver6v33100L10rot_kernelIffiEEvT1_PT0_S2_S4_S2_T_S5_
    .private_segment_fixed_size: 0
    .sgpr_count:     22
    .sgpr_spill_count: 0
    .symbol:         _ZN9rocsolver6v33100L10rot_kernelIffiEEvT1_PT0_S2_S4_S2_T_S5_.kd
    .uniform_work_group_size: 1
    .uses_dynamic_stack: false
    .vgpr_count:     14
    .vgpr_spill_count: 0
    .wavefront_size: 32
  - .args:
      - .offset:         0
        .size:           4
        .value_kind:     by_value
      - .offset:         4
        .size:           4
        .value_kind:     by_value
      - .offset:         8
        .size:           4
        .value_kind:     by_value
      - .offset:         12
        .size:           4
        .value_kind:     by_value
      - .offset:         16
        .size:           4
        .value_kind:     by_value
      - .address_space:  global
        .offset:         24
        .size:           8
        .value_kind:     global_buffer
      - .offset:         32
        .size:           8
        .value_kind:     by_value
      - .address_space:  global
        .offset:         40
        .size:           8
        .value_kind:     global_buffer
      - .offset:         48
        .size:           8
        .value_kind:     by_value
      - .address_space:  global
        .offset:         56
        .size:           8
        .value_kind:     global_buffer
      - .offset:         64
        .size:           8
        .value_kind:     by_value
      - .offset:         72
        .size:           4
        .value_kind:     by_value
      - .offset:         80
        .size:           8
        .value_kind:     by_value
      - .offset:         88
        .size:           4
        .value_kind:     by_value
      - .offset:         96
        .size:           4
        .value_kind:     hidden_block_count_x
      - .offset:         100
        .size:           4
        .value_kind:     hidden_block_count_y
      - .offset:         104
        .size:           4
        .value_kind:     hidden_block_count_z
      - .offset:         108
        .size:           2
        .value_kind:     hidden_group_size_x
      - .offset:         110
        .size:           2
        .value_kind:     hidden_group_size_y
      - .offset:         112
        .size:           2
        .value_kind:     hidden_group_size_z
      - .offset:         114
        .size:           2
        .value_kind:     hidden_remainder_x
      - .offset:         116
        .size:           2
        .value_kind:     hidden_remainder_y
      - .offset:         118
        .size:           2
        .value_kind:     hidden_remainder_z
      - .offset:         136
        .size:           8
        .value_kind:     hidden_global_offset_x
      - .offset:         144
        .size:           8
        .value_kind:     hidden_global_offset_y
      - .offset:         152
        .size:           8
        .value_kind:     hidden_global_offset_z
      - .offset:         160
        .size:           2
        .value_kind:     hidden_grid_dims
    .group_segment_fixed_size: 0
    .kernarg_segment_align: 8
    .kernarg_segment_size: 352
    .language:       OpenCL C
    .language_version:
      - 2
      - 0
    .max_flat_workgroup_size: 64
    .name:           _ZN9rocsolver6v33100L11lasr_kernelIffPfiEEv13rocblas_side_14rocblas_pivot_15rocblas_direct_T2_S6_PT0_lS8_lT1_lS6_lS6_
    .private_segment_fixed_size: 0
    .sgpr_count:     93
    .sgpr_spill_count: 0
    .symbol:         _ZN9rocsolver6v33100L11lasr_kernelIffPfiEEv13rocblas_side_14rocblas_pivot_15rocblas_direct_T2_S6_PT0_lS8_lT1_lS6_lS6_.kd
    .uniform_work_group_size: 1
    .uses_dynamic_stack: false
    .vgpr_count:     42
    .vgpr_spill_count: 0
    .wavefront_size: 32
  - .args:
      - .offset:         0
        .size:           4
        .value_kind:     by_value
      - .offset:         4
        .size:           4
        .value_kind:     by_value
      - .address_space:  global
        .offset:         8
        .size:           8
        .value_kind:     global_buffer
      - .offset:         16
        .size:           4
        .value_kind:     by_value
      - .offset:         24
        .size:           4
        .value_kind:     hidden_block_count_x
      - .offset:         28
        .size:           4
        .value_kind:     hidden_block_count_y
      - .offset:         32
        .size:           4
        .value_kind:     hidden_block_count_z
      - .offset:         36
        .size:           2
        .value_kind:     hidden_group_size_x
      - .offset:         38
        .size:           2
        .value_kind:     hidden_group_size_y
      - .offset:         40
        .size:           2
        .value_kind:     hidden_group_size_z
      - .offset:         42
        .size:           2
        .value_kind:     hidden_remainder_x
      - .offset:         44
        .size:           2
        .value_kind:     hidden_remainder_y
      - .offset:         46
        .size:           2
        .value_kind:     hidden_remainder_z
      - .offset:         64
        .size:           8
        .value_kind:     hidden_global_offset_x
      - .offset:         72
        .size:           8
        .value_kind:     hidden_global_offset_y
      - .offset:         80
        .size:           8
        .value_kind:     hidden_global_offset_z
      - .offset:         88
        .size:           2
        .value_kind:     hidden_grid_dims
    .group_segment_fixed_size: 0
    .kernarg_segment_align: 8
    .kernarg_segment_size: 280
    .language:       OpenCL C
    .language_version:
      - 2
      - 0
    .max_flat_workgroup_size: 1024
    .name:           _ZN9rocsolver6v33100L11scal_kernelIffiEEvT1_T_PT0_S2_
    .private_segment_fixed_size: 0
    .sgpr_count:     12
    .sgpr_spill_count: 0
    .symbol:         _ZN9rocsolver6v33100L11scal_kernelIffiEEvT1_T_PT0_S2_.kd
    .uniform_work_group_size: 1
    .uses_dynamic_stack: false
    .vgpr_count:     5
    .vgpr_spill_count: 0
    .wavefront_size: 32
  - .args:
      - .offset:         0
        .size:           4
        .value_kind:     by_value
      - .offset:         4
        .size:           4
        .value_kind:     by_value
      - .offset:         8
        .size:           4
        .value_kind:     by_value
      - .address_space:  global
        .offset:         16
        .size:           8
        .value_kind:     global_buffer
      - .offset:         24
        .size:           8
        .value_kind:     by_value
      - .address_space:  global
        .offset:         32
        .size:           8
        .value_kind:     global_buffer
      - .offset:         40
        .size:           8
        .value_kind:     by_value
      - .address_space:  global
        .offset:         48
        .size:           8
        .value_kind:     global_buffer
      - .offset:         56
        .size:           4
        .value_kind:     by_value
      - .offset:         60
        .size:           4
        .value_kind:     by_value
      - .offset:         64
        .size:           8
        .value_kind:     by_value
      - .address_space:  global
        .offset:         72
        .size:           8
        .value_kind:     global_buffer
      - .offset:         80
        .size:           4
        .value_kind:     by_value
      - .offset:         84
        .size:           4
        .value_kind:     by_value
      - .offset:         88
        .size:           8
        .value_kind:     by_value
      - .address_space:  global
        .offset:         96
        .size:           8
        .value_kind:     global_buffer
      - .address_space:  global
        .offset:         104
        .size:           8
        .value_kind:     global_buffer
      - .offset:         112
        .size:           8
        .value_kind:     by_value
      - .address_space:  global
        .offset:         120
        .size:           8
        .value_kind:     global_buffer
      - .offset:         128
        .size:           4
        .value_kind:     hidden_block_count_x
      - .offset:         132
        .size:           4
        .value_kind:     hidden_block_count_y
      - .offset:         136
        .size:           4
        .value_kind:     hidden_block_count_z
      - .offset:         140
        .size:           2
        .value_kind:     hidden_group_size_x
      - .offset:         142
        .size:           2
        .value_kind:     hidden_group_size_y
      - .offset:         144
        .size:           2
        .value_kind:     hidden_group_size_z
      - .offset:         146
        .size:           2
        .value_kind:     hidden_remainder_x
      - .offset:         148
        .size:           2
        .value_kind:     hidden_remainder_y
      - .offset:         150
        .size:           2
        .value_kind:     hidden_remainder_z
      - .offset:         168
        .size:           8
        .value_kind:     hidden_global_offset_x
      - .offset:         176
        .size:           8
        .value_kind:     hidden_global_offset_y
      - .offset:         184
        .size:           8
        .value_kind:     hidden_global_offset_z
      - .offset:         192
        .size:           2
        .value_kind:     hidden_grid_dims
    .group_segment_fixed_size: 0
    .kernarg_segment_align: 8
    .kernarg_segment_size: 384
    .language:       OpenCL C
    .language_version:
      - 2
      - 0
    .max_flat_workgroup_size: 1024
    .name:           _ZN9rocsolver6v33100L17bdsqr_lower2upperIffPfS2_EEviiiPT0_lS4_lT1_iilT2_iilPiS4_lS7_
    .private_segment_fixed_size: 0
    .sgpr_count:     39
    .sgpr_spill_count: 0
    .symbol:         _ZN9rocsolver6v33100L17bdsqr_lower2upperIffPfS2_EEviiiPT0_lS4_lT1_iilT2_iilPiS4_lS7_.kd
    .uniform_work_group_size: 1
    .uses_dynamic_stack: false
    .vgpr_count:     18
    .vgpr_spill_count: 0
    .wavefront_size: 32
  - .args:
      - .offset:         0
        .size:           4
        .value_kind:     by_value
      - .offset:         4
        .size:           4
        .value_kind:     by_value
      - .offset:         8
        .size:           4
        .value_kind:     by_value
      - .offset:         12
        .size:           4
        .value_kind:     by_value
      - .address_space:  global
        .offset:         16
        .size:           8
        .value_kind:     global_buffer
      - .offset:         24
        .size:           8
        .value_kind:     by_value
      - .address_space:  global
        .offset:         32
        .size:           8
        .value_kind:     global_buffer
      - .offset:         40
        .size:           8
        .value_kind:     by_value
      - .address_space:  global
        .offset:         48
        .size:           8
        .value_kind:     global_buffer
      - .offset:         56
        .size:           4
        .value_kind:     by_value
      - .offset:         60
        .size:           4
        .value_kind:     by_value
      - .offset:         64
        .size:           8
        .value_kind:     by_value
      - .address_space:  global
        .offset:         72
        .size:           8
        .value_kind:     global_buffer
      - .offset:         80
        .size:           4
        .value_kind:     by_value
      - .offset:         84
        .size:           4
        .value_kind:     by_value
      - .offset:         88
        .size:           8
        .value_kind:     by_value
      - .address_space:  global
        .offset:         96
        .size:           8
        .value_kind:     global_buffer
      - .offset:         104
        .size:           4
        .value_kind:     by_value
      - .offset:         108
        .size:           4
        .value_kind:     by_value
      - .offset:         112
        .size:           8
        .value_kind:     by_value
      - .offset:         120
        .size:           4
        .value_kind:     by_value
      - .offset:         124
        .size:           4
        .value_kind:     by_value
      - .offset:         128
        .size:           4
        .value_kind:     by_value
      - .offset:         132
        .size:           4
        .value_kind:     by_value
      - .offset:         136
        .size:           4
        .value_kind:     by_value
      - .address_space:  global
        .offset:         144
        .size:           8
        .value_kind:     global_buffer
      - .address_space:  global
        .offset:         152
        .size:           8
        .value_kind:     global_buffer
      - .offset:         160
        .size:           4
        .value_kind:     by_value
      - .offset:         168
        .size:           8
        .value_kind:     by_value
      - .address_space:  global
        .offset:         176
        .size:           8
        .value_kind:     global_buffer
      - .offset:         184
        .size:           4
        .value_kind:     hidden_block_count_x
      - .offset:         188
        .size:           4
        .value_kind:     hidden_block_count_y
      - .offset:         192
        .size:           4
        .value_kind:     hidden_block_count_z
      - .offset:         196
        .size:           2
        .value_kind:     hidden_group_size_x
      - .offset:         198
        .size:           2
        .value_kind:     hidden_group_size_y
      - .offset:         200
        .size:           2
        .value_kind:     hidden_group_size_z
      - .offset:         202
        .size:           2
        .value_kind:     hidden_remainder_x
      - .offset:         204
        .size:           2
        .value_kind:     hidden_remainder_y
      - .offset:         206
        .size:           2
        .value_kind:     hidden_remainder_z
      - .offset:         224
        .size:           8
        .value_kind:     hidden_global_offset_x
      - .offset:         232
        .size:           8
        .value_kind:     hidden_global_offset_y
      - .offset:         240
        .size:           8
        .value_kind:     hidden_global_offset_z
      - .offset:         248
        .size:           2
        .value_kind:     hidden_grid_dims
    .group_segment_fixed_size: 1040
    .kernarg_segment_align: 8
    .kernarg_segment_size: 440
    .language:       OpenCL C
    .language_version:
      - 2
      - 0
    .max_flat_workgroup_size: 1024
    .name:           _ZN9rocsolver6v33100L13bdsqr_computeILi256EffPfS2_S2_EEviiiiPT1_lS4_lT2_iilT3_iilT4_iiliS3_S3_S3_S3_PiS4_ilS8_
    .private_segment_fixed_size: 0
    .sgpr_count:     107
    .sgpr_spill_count: 13
    .symbol:         _ZN9rocsolver6v33100L13bdsqr_computeILi256EffPfS2_S2_EEviiiiPT1_lS4_lT2_iilT3_iilT4_iiliS3_S3_S3_S3_PiS4_ilS8_.kd
    .uniform_work_group_size: 1
    .uses_dynamic_stack: false
    .vgpr_count:     30
    .vgpr_spill_count: 0
    .wavefront_size: 32
  - .args:
      - .offset:         0
        .size:           4
        .value_kind:     by_value
      - .offset:         4
        .size:           4
        .value_kind:     by_value
      - .offset:         8
        .size:           4
        .value_kind:     by_value
      - .offset:         12
        .size:           4
        .value_kind:     by_value
      - .address_space:  global
        .offset:         16
        .size:           8
        .value_kind:     global_buffer
      - .offset:         24
        .size:           4
        .value_kind:     by_value
      - .offset:         28
        .size:           4
        .value_kind:     by_value
      - .offset:         32
        .size:           8
        .value_kind:     by_value
      - .address_space:  global
        .offset:         40
        .size:           8
        .value_kind:     global_buffer
      - .offset:         48
        .size:           4
        .value_kind:     by_value
      - .offset:         52
        .size:           4
        .value_kind:     by_value
      - .offset:         56
        .size:           8
        .value_kind:     by_value
      - .address_space:  global
        .offset:         64
        .size:           8
        .value_kind:     global_buffer
      - .offset:         72
        .size:           4
        .value_kind:     by_value
      - .offset:         76
        .size:           4
        .value_kind:     by_value
      - .offset:         80
        .size:           8
        .value_kind:     by_value
      - .offset:         88
        .size:           4
        .value_kind:     by_value
      - .address_space:  global
        .offset:         96
        .size:           8
        .value_kind:     global_buffer
      - .address_space:  global
        .offset:         104
        .size:           8
        .value_kind:     global_buffer
      - .offset:         112
        .size:           4
        .value_kind:     by_value
      - .offset:         120
        .size:           8
        .value_kind:     by_value
      - .address_space:  global
        .offset:         128
        .size:           8
        .value_kind:     global_buffer
      - .offset:         136
        .size:           4
        .value_kind:     hidden_block_count_x
      - .offset:         140
        .size:           4
        .value_kind:     hidden_block_count_y
      - .offset:         144
        .size:           4
        .value_kind:     hidden_block_count_z
      - .offset:         148
        .size:           2
        .value_kind:     hidden_group_size_x
      - .offset:         150
        .size:           2
        .value_kind:     hidden_group_size_y
      - .offset:         152
        .size:           2
        .value_kind:     hidden_group_size_z
      - .offset:         154
        .size:           2
        .value_kind:     hidden_remainder_x
      - .offset:         156
        .size:           2
        .value_kind:     hidden_remainder_y
      - .offset:         158
        .size:           2
        .value_kind:     hidden_remainder_z
      - .offset:         176
        .size:           8
        .value_kind:     hidden_global_offset_x
      - .offset:         184
        .size:           8
        .value_kind:     hidden_global_offset_y
      - .offset:         192
        .size:           8
        .value_kind:     hidden_global_offset_z
      - .offset:         200
        .size:           2
        .value_kind:     hidden_grid_dims
    .group_segment_fixed_size: 0
    .kernarg_segment_align: 8
    .kernarg_segment_size: 392
    .language:       OpenCL C
    .language_version:
      - 2
      - 0
    .max_flat_workgroup_size: 1024
    .name:           _ZN9rocsolver6v33100L12bdsqr_rotateIffPfS2_S2_EEviiiiT1_iilT2_iilT3_iiliPiPT0_ilS6_
    .private_segment_fixed_size: 0
    .sgpr_count:     48
    .sgpr_spill_count: 0
    .symbol:         _ZN9rocsolver6v33100L12bdsqr_rotateIffPfS2_S2_EEviiiiT1_iilT2_iilT3_iiliPiPT0_ilS6_.kd
    .uniform_work_group_size: 1
    .uses_dynamic_stack: false
    .vgpr_count:     18
    .vgpr_spill_count: 0
    .wavefront_size: 32
  - .args:
      - .offset:         0
        .size:           4
        .value_kind:     by_value
      - .address_space:  global
        .offset:         8
        .size:           8
        .value_kind:     global_buffer
      - .offset:         16
        .size:           8
        .value_kind:     by_value
      - .address_space:  global
        .offset:         24
        .size:           8
        .value_kind:     global_buffer
      - .address_space:  global
        .offset:         32
        .size:           8
        .value_kind:     global_buffer
      - .offset:         40
        .size:           8
        .value_kind:     by_value
      - .address_space:  global
        .offset:         48
        .size:           8
        .value_kind:     global_buffer
      - .offset:         56
        .size:           4
        .value_kind:     hidden_block_count_x
      - .offset:         60
        .size:           4
        .value_kind:     hidden_block_count_y
      - .offset:         64
        .size:           4
        .value_kind:     hidden_block_count_z
      - .offset:         68
        .size:           2
        .value_kind:     hidden_group_size_x
      - .offset:         70
        .size:           2
        .value_kind:     hidden_group_size_y
      - .offset:         72
        .size:           2
        .value_kind:     hidden_group_size_z
      - .offset:         74
        .size:           2
        .value_kind:     hidden_remainder_x
      - .offset:         76
        .size:           2
        .value_kind:     hidden_remainder_y
      - .offset:         78
        .size:           2
        .value_kind:     hidden_remainder_z
      - .offset:         96
        .size:           8
        .value_kind:     hidden_global_offset_x
      - .offset:         104
        .size:           8
        .value_kind:     hidden_global_offset_y
      - .offset:         112
        .size:           8
        .value_kind:     hidden_global_offset_z
      - .offset:         120
        .size:           2
        .value_kind:     hidden_grid_dims
    .group_segment_fixed_size: 0
    .kernarg_segment_align: 8
    .kernarg_segment_size: 312
    .language:       OpenCL C
    .language_version:
      - 2
      - 0
    .max_flat_workgroup_size: 1024
    .name:           _ZN9rocsolver6v33100L22bdsqr_update_endpointsIffEEviPT0_lPiS3_lS4_
    .private_segment_fixed_size: 0
    .sgpr_count:     26
    .sgpr_spill_count: 0
    .symbol:         _ZN9rocsolver6v33100L22bdsqr_update_endpointsIffEEviPT0_lPiS3_lS4_.kd
    .uniform_work_group_size: 1
    .uses_dynamic_stack: false
    .vgpr_count:     8
    .vgpr_spill_count: 0
    .wavefront_size: 32
  - .args:
      - .offset:         0
        .size:           4
        .value_kind:     by_value
      - .offset:         4
        .size:           4
        .value_kind:     by_value
      - .address_space:  global
        .offset:         8
        .size:           8
        .value_kind:     global_buffer
      - .address_space:  global
        .offset:         16
        .size:           8
        .value_kind:     global_buffer
      - .offset:         24
        .size:           8
        .value_kind:     by_value
      - .address_space:  global
        .offset:         32
        .size:           8
        .value_kind:     global_buffer
    .group_segment_fixed_size: 0
    .kernarg_segment_align: 8
    .kernarg_segment_size: 40
    .language:       OpenCL C
    .language_version:
      - 2
      - 0
    .max_flat_workgroup_size: 1024
    .name:           _ZN9rocsolver6v33100L19bdsqr_chk_completedIffEEviiPiPT0_lS2_
    .private_segment_fixed_size: 0
    .sgpr_count:     18
    .sgpr_spill_count: 0
    .symbol:         _ZN9rocsolver6v33100L19bdsqr_chk_completedIffEEviiPiPT0_lS2_.kd
    .uniform_work_group_size: 1
    .uses_dynamic_stack: false
    .vgpr_count:     4
    .vgpr_spill_count: 0
    .wavefront_size: 32
  - .args:
      - .offset:         0
        .size:           4
        .value_kind:     by_value
      - .offset:         4
        .size:           4
        .value_kind:     by_value
      - .offset:         8
        .size:           4
        .value_kind:     by_value
      - .offset:         12
        .size:           4
        .value_kind:     by_value
      - .address_space:  global
        .offset:         16
        .size:           8
        .value_kind:     global_buffer
      - .offset:         24
        .size:           8
        .value_kind:     by_value
      - .address_space:  global
        .offset:         32
        .size:           8
        .value_kind:     global_buffer
      - .offset:         40
        .size:           8
        .value_kind:     by_value
      - .address_space:  global
        .offset:         48
        .size:           8
        .value_kind:     global_buffer
      - .offset:         56
        .size:           4
        .value_kind:     by_value
      - .offset:         60
        .size:           4
        .value_kind:     by_value
      - .offset:         64
        .size:           8
        .value_kind:     by_value
      - .address_space:  global
        .offset:         72
        .size:           8
        .value_kind:     global_buffer
      - .offset:         80
        .size:           4
        .value_kind:     by_value
      - .offset:         84
        .size:           4
        .value_kind:     by_value
      - .offset:         88
        .size:           8
        .value_kind:     by_value
      - .address_space:  global
        .offset:         96
        .size:           8
        .value_kind:     global_buffer
      - .offset:         104
        .size:           4
        .value_kind:     by_value
      - .offset:         108
        .size:           4
        .value_kind:     by_value
      - .offset:         112
        .size:           8
        .value_kind:     by_value
      - .address_space:  global
        .offset:         120
        .size:           8
        .value_kind:     global_buffer
      - .address_space:  global
        .offset:         128
        .size:           8
        .value_kind:     global_buffer
      - .address_space:  global
        .offset:         136
        .size:           8
        .value_kind:     global_buffer
      - .offset:         144
        .size:           4
        .value_kind:     hidden_block_count_x
      - .offset:         148
        .size:           4
        .value_kind:     hidden_block_count_y
      - .offset:         152
        .size:           4
        .value_kind:     hidden_block_count_z
      - .offset:         156
        .size:           2
        .value_kind:     hidden_group_size_x
      - .offset:         158
        .size:           2
        .value_kind:     hidden_group_size_y
      - .offset:         160
        .size:           2
        .value_kind:     hidden_group_size_z
      - .offset:         162
        .size:           2
        .value_kind:     hidden_remainder_x
      - .offset:         164
        .size:           2
        .value_kind:     hidden_remainder_y
      - .offset:         166
        .size:           2
        .value_kind:     hidden_remainder_z
      - .offset:         184
        .size:           8
        .value_kind:     hidden_global_offset_x
      - .offset:         192
        .size:           8
        .value_kind:     hidden_global_offset_y
      - .offset:         200
        .size:           8
        .value_kind:     hidden_global_offset_z
      - .offset:         208
        .size:           2
        .value_kind:     hidden_grid_dims
      - .offset:         224
        .size:           8
        .value_kind:     hidden_hostcall_buffer
    .group_segment_fixed_size: 0
    .kernarg_segment_align: 8
    .kernarg_segment_size: 400
    .language:       OpenCL C
    .language_version:
      - 2
      - 0
    .max_flat_workgroup_size: 1024
    .name:           _ZN9rocsolver6v33100L14bdsqr_finalizeIffPfS2_S2_EEviiiiPT0_lS4_lT1_iilT2_iilT3_iilPiS8_S8_
    .private_segment_fixed_size: 64
    .sgpr_count:     62
    .sgpr_spill_count: 0
    .symbol:         _ZN9rocsolver6v33100L14bdsqr_finalizeIffPfS2_S2_EEviiiiPT0_lS4_lT1_iilT2_iilT3_iilPiS8_S8_.kd
    .uniform_work_group_size: 1
    .uses_dynamic_stack: false
    .vgpr_count:     49
    .vgpr_spill_count: 0
    .wavefront_size: 32
  - .args:
      - .offset:         0
        .size:           4
        .value_kind:     by_value
      - .address_space:  global
        .offset:         8
        .size:           8
        .value_kind:     global_buffer
      - .offset:         16
        .size:           8
        .value_kind:     by_value
      - .address_space:  global
        .offset:         24
        .size:           8
        .value_kind:     global_buffer
      - .offset:         32
        .size:           8
        .value_kind:     by_value
      - .address_space:  global
        .offset:         40
        .size:           8
        .value_kind:     global_buffer
      - .offset:         48
        .size:           4
        .value_kind:     by_value
      - .offset:         56
        .size:           8
        .value_kind:     by_value
      - .offset:         64
        .size:           8
        .value_kind:     by_value
      - .address_space:  global
        .offset:         72
        .size:           8
        .value_kind:     global_buffer
      - .address_space:  global
        .offset:         80
        .size:           8
        .value_kind:     global_buffer
      - .offset:         88
        .size:           8
        .value_kind:     by_value
      - .address_space:  global
        .offset:         96
        .size:           8
        .value_kind:     global_buffer
    .group_segment_fixed_size: 0
    .kernarg_segment_align: 8
    .kernarg_segment_size: 104
    .language:       OpenCL C
    .language_version:
      - 2
      - 0
    .max_flat_workgroup_size: 1024
    .name:           _ZN9rocsolver6v33100L10bdsqr_initIddEEviPT0_lS3_lPiiS2_S2_S4_S3_lS4_
    .private_segment_fixed_size: 0
    .sgpr_count:     46
    .sgpr_spill_count: 0
    .symbol:         _ZN9rocsolver6v33100L10bdsqr_initIddEEviPT0_lS3_lPiiS2_S2_S4_S3_lS4_.kd
    .uniform_work_group_size: 1
    .uses_dynamic_stack: false
    .vgpr_count:     14
    .vgpr_spill_count: 0
    .wavefront_size: 32
  - .args:
      - .offset:         0
        .size:           4
        .value_kind:     by_value
      - .address_space:  global
        .offset:         8
        .size:           8
        .value_kind:     global_buffer
      - .offset:         16
        .size:           4
        .value_kind:     by_value
      - .address_space:  global
        .offset:         24
        .size:           8
        .value_kind:     global_buffer
      - .offset:         32
        .size:           4
        .value_kind:     by_value
      - .offset:         40
        .size:           4
        .value_kind:     hidden_block_count_x
      - .offset:         44
        .size:           4
        .value_kind:     hidden_block_count_y
      - .offset:         48
        .size:           4
        .value_kind:     hidden_block_count_z
      - .offset:         52
        .size:           2
        .value_kind:     hidden_group_size_x
      - .offset:         54
        .size:           2
        .value_kind:     hidden_group_size_y
      - .offset:         56
        .size:           2
        .value_kind:     hidden_group_size_z
      - .offset:         58
        .size:           2
        .value_kind:     hidden_remainder_x
      - .offset:         60
        .size:           2
        .value_kind:     hidden_remainder_y
      - .offset:         62
        .size:           2
        .value_kind:     hidden_remainder_z
      - .offset:         80
        .size:           8
        .value_kind:     hidden_global_offset_x
      - .offset:         88
        .size:           8
        .value_kind:     hidden_global_offset_y
      - .offset:         96
        .size:           8
        .value_kind:     hidden_global_offset_z
      - .offset:         104
        .size:           2
        .value_kind:     hidden_grid_dims
    .group_segment_fixed_size: 0
    .kernarg_segment_align: 8
    .kernarg_segment_size: 296
    .language:       OpenCL C
    .language_version:
      - 2
      - 0
    .max_flat_workgroup_size: 1024
    .name:           _ZN9rocsolver6v33100L11swap_kernelIdiEEvT0_PT_S2_S4_S2_
    .private_segment_fixed_size: 0
    .sgpr_count:     18
    .sgpr_spill_count: 0
    .symbol:         _ZN9rocsolver6v33100L11swap_kernelIdiEEvT0_PT_S2_S4_S2_.kd
    .uniform_work_group_size: 1
    .uses_dynamic_stack: false
    .vgpr_count:     12
    .vgpr_spill_count: 0
    .wavefront_size: 32
  - .args:
      - .offset:         0
        .size:           4
        .value_kind:     by_value
      - .address_space:  global
        .offset:         8
        .size:           8
        .value_kind:     global_buffer
      - .offset:         16
        .size:           4
        .value_kind:     by_value
      - .address_space:  global
        .offset:         24
        .size:           8
        .value_kind:     global_buffer
      - .offset:         32
        .size:           4
        .value_kind:     by_value
      - .offset:         40
        .size:           8
        .value_kind:     by_value
      - .offset:         48
        .size:           8
        .value_kind:     by_value
      - .offset:         56
        .size:           4
        .value_kind:     hidden_block_count_x
      - .offset:         60
        .size:           4
        .value_kind:     hidden_block_count_y
      - .offset:         64
        .size:           4
        .value_kind:     hidden_block_count_z
      - .offset:         68
        .size:           2
        .value_kind:     hidden_group_size_x
      - .offset:         70
        .size:           2
        .value_kind:     hidden_group_size_y
      - .offset:         72
        .size:           2
        .value_kind:     hidden_group_size_z
      - .offset:         74
        .size:           2
        .value_kind:     hidden_remainder_x
      - .offset:         76
        .size:           2
        .value_kind:     hidden_remainder_y
      - .offset:         78
        .size:           2
        .value_kind:     hidden_remainder_z
      - .offset:         96
        .size:           8
        .value_kind:     hidden_global_offset_x
      - .offset:         104
        .size:           8
        .value_kind:     hidden_global_offset_y
      - .offset:         112
        .size:           8
        .value_kind:     hidden_global_offset_z
      - .offset:         120
        .size:           2
        .value_kind:     hidden_grid_dims
    .group_segment_fixed_size: 0
    .kernarg_segment_align: 8
    .kernarg_segment_size: 312
    .language:       OpenCL C
    .language_version:
      - 2
      - 0
    .max_flat_workgroup_size: 1024
    .name:           _ZN9rocsolver6v33100L10rot_kernelIddiEEvT1_PT0_S2_S4_S2_T_S5_
    .private_segment_fixed_size: 0
    .sgpr_count:     22
    .sgpr_spill_count: 0
    .symbol:         _ZN9rocsolver6v33100L10rot_kernelIddiEEvT1_PT0_S2_S4_S2_T_S5_.kd
    .uniform_work_group_size: 1
    .uses_dynamic_stack: false
    .vgpr_count:     16
    .vgpr_spill_count: 0
    .wavefront_size: 32
  - .args:
      - .offset:         0
        .size:           4
        .value_kind:     by_value
      - .offset:         4
        .size:           4
        .value_kind:     by_value
      - .offset:         8
        .size:           4
        .value_kind:     by_value
      - .offset:         12
        .size:           4
        .value_kind:     by_value
      - .offset:         16
        .size:           4
        .value_kind:     by_value
      - .address_space:  global
        .offset:         24
        .size:           8
        .value_kind:     global_buffer
      - .offset:         32
        .size:           8
        .value_kind:     by_value
      - .address_space:  global
        .offset:         40
        .size:           8
        .value_kind:     global_buffer
      - .offset:         48
        .size:           8
        .value_kind:     by_value
      - .address_space:  global
        .offset:         56
        .size:           8
        .value_kind:     global_buffer
      - .offset:         64
        .size:           8
        .value_kind:     by_value
      - .offset:         72
        .size:           4
        .value_kind:     by_value
      - .offset:         80
        .size:           8
        .value_kind:     by_value
      - .offset:         88
        .size:           4
        .value_kind:     by_value
      - .offset:         96
        .size:           4
        .value_kind:     hidden_block_count_x
      - .offset:         100
        .size:           4
        .value_kind:     hidden_block_count_y
      - .offset:         104
        .size:           4
        .value_kind:     hidden_block_count_z
      - .offset:         108
        .size:           2
        .value_kind:     hidden_group_size_x
      - .offset:         110
        .size:           2
        .value_kind:     hidden_group_size_y
      - .offset:         112
        .size:           2
        .value_kind:     hidden_group_size_z
      - .offset:         114
        .size:           2
        .value_kind:     hidden_remainder_x
      - .offset:         116
        .size:           2
        .value_kind:     hidden_remainder_y
      - .offset:         118
        .size:           2
        .value_kind:     hidden_remainder_z
      - .offset:         136
        .size:           8
        .value_kind:     hidden_global_offset_x
      - .offset:         144
        .size:           8
        .value_kind:     hidden_global_offset_y
      - .offset:         152
        .size:           8
        .value_kind:     hidden_global_offset_z
      - .offset:         160
        .size:           2
        .value_kind:     hidden_grid_dims
    .group_segment_fixed_size: 0
    .kernarg_segment_align: 8
    .kernarg_segment_size: 352
    .language:       OpenCL C
    .language_version:
      - 2
      - 0
    .max_flat_workgroup_size: 64
    .name:           _ZN9rocsolver6v33100L11lasr_kernelIddPdiEEv13rocblas_side_14rocblas_pivot_15rocblas_direct_T2_S6_PT0_lS8_lT1_lS6_lS6_
    .private_segment_fixed_size: 0
    .sgpr_count:     93
    .sgpr_spill_count: 0
    .symbol:         _ZN9rocsolver6v33100L11lasr_kernelIddPdiEEv13rocblas_side_14rocblas_pivot_15rocblas_direct_T2_S6_PT0_lS8_lT1_lS6_lS6_.kd
    .uniform_work_group_size: 1
    .uses_dynamic_stack: false
    .vgpr_count:     46
    .vgpr_spill_count: 0
    .wavefront_size: 32
  - .args:
      - .offset:         0
        .size:           4
        .value_kind:     by_value
      - .offset:         8
        .size:           8
        .value_kind:     by_value
      - .address_space:  global
        .offset:         16
        .size:           8
        .value_kind:     global_buffer
      - .offset:         24
        .size:           4
        .value_kind:     by_value
      - .offset:         32
        .size:           4
        .value_kind:     hidden_block_count_x
      - .offset:         36
        .size:           4
        .value_kind:     hidden_block_count_y
      - .offset:         40
        .size:           4
        .value_kind:     hidden_block_count_z
      - .offset:         44
        .size:           2
        .value_kind:     hidden_group_size_x
      - .offset:         46
        .size:           2
        .value_kind:     hidden_group_size_y
      - .offset:         48
        .size:           2
        .value_kind:     hidden_group_size_z
      - .offset:         50
        .size:           2
        .value_kind:     hidden_remainder_x
      - .offset:         52
        .size:           2
        .value_kind:     hidden_remainder_y
      - .offset:         54
        .size:           2
        .value_kind:     hidden_remainder_z
      - .offset:         72
        .size:           8
        .value_kind:     hidden_global_offset_x
      - .offset:         80
        .size:           8
        .value_kind:     hidden_global_offset_y
      - .offset:         88
        .size:           8
        .value_kind:     hidden_global_offset_z
      - .offset:         96
        .size:           2
        .value_kind:     hidden_grid_dims
    .group_segment_fixed_size: 0
    .kernarg_segment_align: 8
    .kernarg_segment_size: 288
    .language:       OpenCL C
    .language_version:
      - 2
      - 0
    .max_flat_workgroup_size: 1024
    .name:           _ZN9rocsolver6v33100L11scal_kernelIddiEEvT1_T_PT0_S2_
    .private_segment_fixed_size: 0
    .sgpr_count:     13
    .sgpr_spill_count: 0
    .symbol:         _ZN9rocsolver6v33100L11scal_kernelIddiEEvT1_T_PT0_S2_.kd
    .uniform_work_group_size: 1
    .uses_dynamic_stack: false
    .vgpr_count:     6
    .vgpr_spill_count: 0
    .wavefront_size: 32
  - .args:
      - .offset:         0
        .size:           4
        .value_kind:     by_value
      - .offset:         4
        .size:           4
        .value_kind:     by_value
      - .offset:         8
        .size:           4
        .value_kind:     by_value
      - .address_space:  global
        .offset:         16
        .size:           8
        .value_kind:     global_buffer
      - .offset:         24
        .size:           8
        .value_kind:     by_value
      - .address_space:  global
        .offset:         32
        .size:           8
        .value_kind:     global_buffer
      - .offset:         40
        .size:           8
        .value_kind:     by_value
      - .address_space:  global
        .offset:         48
        .size:           8
        .value_kind:     global_buffer
      - .offset:         56
        .size:           4
        .value_kind:     by_value
      - .offset:         60
        .size:           4
        .value_kind:     by_value
      - .offset:         64
        .size:           8
        .value_kind:     by_value
      - .address_space:  global
        .offset:         72
        .size:           8
        .value_kind:     global_buffer
      - .offset:         80
        .size:           4
        .value_kind:     by_value
      - .offset:         84
        .size:           4
        .value_kind:     by_value
      - .offset:         88
        .size:           8
        .value_kind:     by_value
      - .address_space:  global
        .offset:         96
        .size:           8
        .value_kind:     global_buffer
      - .address_space:  global
        .offset:         104
        .size:           8
        .value_kind:     global_buffer
      - .offset:         112
        .size:           8
        .value_kind:     by_value
      - .address_space:  global
        .offset:         120
        .size:           8
        .value_kind:     global_buffer
      - .offset:         128
        .size:           4
        .value_kind:     hidden_block_count_x
      - .offset:         132
        .size:           4
        .value_kind:     hidden_block_count_y
      - .offset:         136
        .size:           4
        .value_kind:     hidden_block_count_z
      - .offset:         140
        .size:           2
        .value_kind:     hidden_group_size_x
      - .offset:         142
        .size:           2
        .value_kind:     hidden_group_size_y
      - .offset:         144
        .size:           2
        .value_kind:     hidden_group_size_z
      - .offset:         146
        .size:           2
        .value_kind:     hidden_remainder_x
      - .offset:         148
        .size:           2
        .value_kind:     hidden_remainder_y
      - .offset:         150
        .size:           2
        .value_kind:     hidden_remainder_z
      - .offset:         168
        .size:           8
        .value_kind:     hidden_global_offset_x
      - .offset:         176
        .size:           8
        .value_kind:     hidden_global_offset_y
      - .offset:         184
        .size:           8
        .value_kind:     hidden_global_offset_z
      - .offset:         192
        .size:           2
        .value_kind:     hidden_grid_dims
    .group_segment_fixed_size: 0
    .kernarg_segment_align: 8
    .kernarg_segment_size: 384
    .language:       OpenCL C
    .language_version:
      - 2
      - 0
    .max_flat_workgroup_size: 1024
    .name:           _ZN9rocsolver6v33100L17bdsqr_lower2upperIddPdS2_EEviiiPT0_lS4_lT1_iilT2_iilPiS4_lS7_
    .private_segment_fixed_size: 0
    .sgpr_count:     34
    .sgpr_spill_count: 0
    .symbol:         _ZN9rocsolver6v33100L17bdsqr_lower2upperIddPdS2_EEviiiPT0_lS4_lT1_iilT2_iilPiS4_lS7_.kd
    .uniform_work_group_size: 1
    .uses_dynamic_stack: false
    .vgpr_count:     20
    .vgpr_spill_count: 0
    .wavefront_size: 32
  - .args:
      - .offset:         0
        .size:           4
        .value_kind:     by_value
      - .offset:         4
        .size:           4
        .value_kind:     by_value
      - .offset:         8
        .size:           4
        .value_kind:     by_value
      - .offset:         12
        .size:           4
        .value_kind:     by_value
      - .address_space:  global
        .offset:         16
        .size:           8
        .value_kind:     global_buffer
      - .offset:         24
        .size:           8
        .value_kind:     by_value
      - .address_space:  global
        .offset:         32
        .size:           8
        .value_kind:     global_buffer
      - .offset:         40
        .size:           8
        .value_kind:     by_value
      - .address_space:  global
        .offset:         48
        .size:           8
        .value_kind:     global_buffer
      - .offset:         56
        .size:           4
        .value_kind:     by_value
      - .offset:         60
        .size:           4
        .value_kind:     by_value
      - .offset:         64
        .size:           8
        .value_kind:     by_value
      - .address_space:  global
        .offset:         72
        .size:           8
        .value_kind:     global_buffer
      - .offset:         80
        .size:           4
        .value_kind:     by_value
      - .offset:         84
        .size:           4
        .value_kind:     by_value
      - .offset:         88
        .size:           8
        .value_kind:     by_value
      - .address_space:  global
        .offset:         96
        .size:           8
        .value_kind:     global_buffer
      - .offset:         104
        .size:           4
        .value_kind:     by_value
      - .offset:         108
        .size:           4
        .value_kind:     by_value
      - .offset:         112
        .size:           8
        .value_kind:     by_value
      - .offset:         120
        .size:           4
        .value_kind:     by_value
      - .offset:         128
        .size:           8
        .value_kind:     by_value
      - .offset:         136
        .size:           8
        .value_kind:     by_value
      - .offset:         144
        .size:           8
        .value_kind:     by_value
      - .offset:         152
        .size:           8
        .value_kind:     by_value
      - .address_space:  global
        .offset:         160
        .size:           8
        .value_kind:     global_buffer
      - .address_space:  global
        .offset:         168
        .size:           8
        .value_kind:     global_buffer
      - .offset:         176
        .size:           4
        .value_kind:     by_value
      - .offset:         184
        .size:           8
        .value_kind:     by_value
      - .address_space:  global
        .offset:         192
        .size:           8
        .value_kind:     global_buffer
      - .offset:         200
        .size:           4
        .value_kind:     hidden_block_count_x
      - .offset:         204
        .size:           4
        .value_kind:     hidden_block_count_y
      - .offset:         208
        .size:           4
        .value_kind:     hidden_block_count_z
      - .offset:         212
        .size:           2
        .value_kind:     hidden_group_size_x
      - .offset:         214
        .size:           2
        .value_kind:     hidden_group_size_y
      - .offset:         216
        .size:           2
        .value_kind:     hidden_group_size_z
      - .offset:         218
        .size:           2
        .value_kind:     hidden_remainder_x
      - .offset:         220
        .size:           2
        .value_kind:     hidden_remainder_y
      - .offset:         222
        .size:           2
        .value_kind:     hidden_remainder_z
      - .offset:         240
        .size:           8
        .value_kind:     hidden_global_offset_x
      - .offset:         248
        .size:           8
        .value_kind:     hidden_global_offset_y
      - .offset:         256
        .size:           8
        .value_kind:     hidden_global_offset_z
      - .offset:         264
        .size:           2
        .value_kind:     hidden_grid_dims
    .group_segment_fixed_size: 2072
    .kernarg_segment_align: 8
    .kernarg_segment_size: 456
    .language:       OpenCL C
    .language_version:
      - 2
      - 0
    .max_flat_workgroup_size: 1024
    .name:           _ZN9rocsolver6v33100L13bdsqr_computeILi256EddPdS2_S2_EEviiiiPT1_lS4_lT2_iilT3_iilT4_iiliS3_S3_S3_S3_PiS4_ilS8_
    .private_segment_fixed_size: 0
    .sgpr_count:     107
    .sgpr_spill_count: 10
    .symbol:         _ZN9rocsolver6v33100L13bdsqr_computeILi256EddPdS2_S2_EEviiiiPT1_lS4_lT2_iilT3_iilT4_iiliS3_S3_S3_S3_PiS4_ilS8_.kd
    .uniform_work_group_size: 1
    .uses_dynamic_stack: false
    .vgpr_count:     35
    .vgpr_spill_count: 0
    .wavefront_size: 32
  - .args:
      - .offset:         0
        .size:           4
        .value_kind:     by_value
      - .offset:         4
        .size:           4
        .value_kind:     by_value
      - .offset:         8
        .size:           4
        .value_kind:     by_value
      - .offset:         12
        .size:           4
        .value_kind:     by_value
      - .address_space:  global
        .offset:         16
        .size:           8
        .value_kind:     global_buffer
      - .offset:         24
        .size:           4
        .value_kind:     by_value
      - .offset:         28
        .size:           4
        .value_kind:     by_value
      - .offset:         32
        .size:           8
        .value_kind:     by_value
      - .address_space:  global
        .offset:         40
        .size:           8
        .value_kind:     global_buffer
      - .offset:         48
        .size:           4
        .value_kind:     by_value
      - .offset:         52
        .size:           4
        .value_kind:     by_value
      - .offset:         56
        .size:           8
        .value_kind:     by_value
      - .address_space:  global
        .offset:         64
        .size:           8
        .value_kind:     global_buffer
      - .offset:         72
        .size:           4
        .value_kind:     by_value
      - .offset:         76
        .size:           4
        .value_kind:     by_value
      - .offset:         80
        .size:           8
        .value_kind:     by_value
      - .offset:         88
        .size:           4
        .value_kind:     by_value
      - .address_space:  global
        .offset:         96
        .size:           8
        .value_kind:     global_buffer
      - .address_space:  global
        .offset:         104
        .size:           8
        .value_kind:     global_buffer
      - .offset:         112
        .size:           4
        .value_kind:     by_value
      - .offset:         120
        .size:           8
        .value_kind:     by_value
      - .address_space:  global
        .offset:         128
        .size:           8
        .value_kind:     global_buffer
      - .offset:         136
        .size:           4
        .value_kind:     hidden_block_count_x
      - .offset:         140
        .size:           4
        .value_kind:     hidden_block_count_y
      - .offset:         144
        .size:           4
        .value_kind:     hidden_block_count_z
      - .offset:         148
        .size:           2
        .value_kind:     hidden_group_size_x
      - .offset:         150
        .size:           2
        .value_kind:     hidden_group_size_y
      - .offset:         152
        .size:           2
        .value_kind:     hidden_group_size_z
      - .offset:         154
        .size:           2
        .value_kind:     hidden_remainder_x
      - .offset:         156
        .size:           2
        .value_kind:     hidden_remainder_y
      - .offset:         158
        .size:           2
        .value_kind:     hidden_remainder_z
      - .offset:         176
        .size:           8
        .value_kind:     hidden_global_offset_x
      - .offset:         184
        .size:           8
        .value_kind:     hidden_global_offset_y
      - .offset:         192
        .size:           8
        .value_kind:     hidden_global_offset_z
      - .offset:         200
        .size:           2
        .value_kind:     hidden_grid_dims
    .group_segment_fixed_size: 0
    .kernarg_segment_align: 8
    .kernarg_segment_size: 392
    .language:       OpenCL C
    .language_version:
      - 2
      - 0
    .max_flat_workgroup_size: 1024
    .name:           _ZN9rocsolver6v33100L12bdsqr_rotateIddPdS2_S2_EEviiiiT1_iilT2_iilT3_iiliPiPT0_ilS6_
    .private_segment_fixed_size: 0
    .sgpr_count:     48
    .sgpr_spill_count: 0
    .symbol:         _ZN9rocsolver6v33100L12bdsqr_rotateIddPdS2_S2_EEviiiiT1_iilT2_iilT3_iiliPiPT0_ilS6_.kd
    .uniform_work_group_size: 1
    .uses_dynamic_stack: false
    .vgpr_count:     22
    .vgpr_spill_count: 0
    .wavefront_size: 32
  - .args:
      - .offset:         0
        .size:           4
        .value_kind:     by_value
      - .address_space:  global
        .offset:         8
        .size:           8
        .value_kind:     global_buffer
      - .offset:         16
        .size:           8
        .value_kind:     by_value
      - .address_space:  global
        .offset:         24
        .size:           8
        .value_kind:     global_buffer
      - .address_space:  global
        .offset:         32
        .size:           8
        .value_kind:     global_buffer
      - .offset:         40
        .size:           8
        .value_kind:     by_value
      - .address_space:  global
        .offset:         48
        .size:           8
        .value_kind:     global_buffer
      - .offset:         56
        .size:           4
        .value_kind:     hidden_block_count_x
      - .offset:         60
        .size:           4
        .value_kind:     hidden_block_count_y
      - .offset:         64
        .size:           4
        .value_kind:     hidden_block_count_z
      - .offset:         68
        .size:           2
        .value_kind:     hidden_group_size_x
      - .offset:         70
        .size:           2
        .value_kind:     hidden_group_size_y
      - .offset:         72
        .size:           2
        .value_kind:     hidden_group_size_z
      - .offset:         74
        .size:           2
        .value_kind:     hidden_remainder_x
      - .offset:         76
        .size:           2
        .value_kind:     hidden_remainder_y
      - .offset:         78
        .size:           2
        .value_kind:     hidden_remainder_z
      - .offset:         96
        .size:           8
        .value_kind:     hidden_global_offset_x
      - .offset:         104
        .size:           8
        .value_kind:     hidden_global_offset_y
      - .offset:         112
        .size:           8
        .value_kind:     hidden_global_offset_z
      - .offset:         120
        .size:           2
        .value_kind:     hidden_grid_dims
    .group_segment_fixed_size: 0
    .kernarg_segment_align: 8
    .kernarg_segment_size: 312
    .language:       OpenCL C
    .language_version:
      - 2
      - 0
    .max_flat_workgroup_size: 1024
    .name:           _ZN9rocsolver6v33100L22bdsqr_update_endpointsIddEEviPT0_lPiS3_lS4_
    .private_segment_fixed_size: 0
    .sgpr_count:     25
    .sgpr_spill_count: 0
    .symbol:         _ZN9rocsolver6v33100L22bdsqr_update_endpointsIddEEviPT0_lPiS3_lS4_.kd
    .uniform_work_group_size: 1
    .uses_dynamic_stack: false
    .vgpr_count:     12
    .vgpr_spill_count: 0
    .wavefront_size: 32
  - .args:
      - .offset:         0
        .size:           4
        .value_kind:     by_value
      - .offset:         4
        .size:           4
        .value_kind:     by_value
      - .address_space:  global
        .offset:         8
        .size:           8
        .value_kind:     global_buffer
      - .address_space:  global
        .offset:         16
        .size:           8
        .value_kind:     global_buffer
      - .offset:         24
        .size:           8
        .value_kind:     by_value
      - .address_space:  global
        .offset:         32
        .size:           8
        .value_kind:     global_buffer
    .group_segment_fixed_size: 0
    .kernarg_segment_align: 8
    .kernarg_segment_size: 40
    .language:       OpenCL C
    .language_version:
      - 2
      - 0
    .max_flat_workgroup_size: 1024
    .name:           _ZN9rocsolver6v33100L19bdsqr_chk_completedIddEEviiPiPT0_lS2_
    .private_segment_fixed_size: 0
    .sgpr_count:     22
    .sgpr_spill_count: 0
    .symbol:         _ZN9rocsolver6v33100L19bdsqr_chk_completedIddEEviiPiPT0_lS2_.kd
    .uniform_work_group_size: 1
    .uses_dynamic_stack: false
    .vgpr_count:     6
    .vgpr_spill_count: 0
    .wavefront_size: 32
  - .args:
      - .offset:         0
        .size:           4
        .value_kind:     by_value
      - .offset:         4
        .size:           4
        .value_kind:     by_value
      - .offset:         8
        .size:           4
        .value_kind:     by_value
      - .offset:         12
        .size:           4
        .value_kind:     by_value
      - .address_space:  global
        .offset:         16
        .size:           8
        .value_kind:     global_buffer
      - .offset:         24
        .size:           8
        .value_kind:     by_value
      - .address_space:  global
        .offset:         32
        .size:           8
        .value_kind:     global_buffer
      - .offset:         40
        .size:           8
        .value_kind:     by_value
      - .address_space:  global
        .offset:         48
        .size:           8
        .value_kind:     global_buffer
      - .offset:         56
        .size:           4
        .value_kind:     by_value
      - .offset:         60
        .size:           4
        .value_kind:     by_value
      - .offset:         64
        .size:           8
        .value_kind:     by_value
      - .address_space:  global
        .offset:         72
        .size:           8
        .value_kind:     global_buffer
      - .offset:         80
        .size:           4
        .value_kind:     by_value
      - .offset:         84
        .size:           4
        .value_kind:     by_value
      - .offset:         88
        .size:           8
        .value_kind:     by_value
      - .address_space:  global
        .offset:         96
        .size:           8
        .value_kind:     global_buffer
      - .offset:         104
        .size:           4
        .value_kind:     by_value
      - .offset:         108
        .size:           4
        .value_kind:     by_value
      - .offset:         112
        .size:           8
        .value_kind:     by_value
      - .address_space:  global
        .offset:         120
        .size:           8
        .value_kind:     global_buffer
      - .address_space:  global
        .offset:         128
        .size:           8
        .value_kind:     global_buffer
      - .address_space:  global
        .offset:         136
        .size:           8
        .value_kind:     global_buffer
      - .offset:         144
        .size:           4
        .value_kind:     hidden_block_count_x
      - .offset:         148
        .size:           4
        .value_kind:     hidden_block_count_y
      - .offset:         152
        .size:           4
        .value_kind:     hidden_block_count_z
      - .offset:         156
        .size:           2
        .value_kind:     hidden_group_size_x
      - .offset:         158
        .size:           2
        .value_kind:     hidden_group_size_y
      - .offset:         160
        .size:           2
        .value_kind:     hidden_group_size_z
      - .offset:         162
        .size:           2
        .value_kind:     hidden_remainder_x
      - .offset:         164
        .size:           2
        .value_kind:     hidden_remainder_y
      - .offset:         166
        .size:           2
        .value_kind:     hidden_remainder_z
      - .offset:         184
        .size:           8
        .value_kind:     hidden_global_offset_x
      - .offset:         192
        .size:           8
        .value_kind:     hidden_global_offset_y
      - .offset:         200
        .size:           8
        .value_kind:     hidden_global_offset_z
      - .offset:         208
        .size:           2
        .value_kind:     hidden_grid_dims
      - .offset:         224
        .size:           8
        .value_kind:     hidden_hostcall_buffer
    .group_segment_fixed_size: 0
    .kernarg_segment_align: 8
    .kernarg_segment_size: 400
    .language:       OpenCL C
    .language_version:
      - 2
      - 0
    .max_flat_workgroup_size: 1024
    .name:           _ZN9rocsolver6v33100L14bdsqr_finalizeIddPdS2_S2_EEviiiiPT0_lS4_lT1_iilT2_iilT3_iilPiS8_S8_
    .private_segment_fixed_size: 64
    .sgpr_count:     62
    .sgpr_spill_count: 0
    .symbol:         _ZN9rocsolver6v33100L14bdsqr_finalizeIddPdS2_S2_EEviiiiPT0_lS4_lT1_iilT2_iilT3_iilPiS8_S8_.kd
    .uniform_work_group_size: 1
    .uses_dynamic_stack: false
    .vgpr_count:     49
    .vgpr_spill_count: 0
    .wavefront_size: 32
  - .args:
      - .offset:         0
        .size:           4
        .value_kind:     by_value
      - .address_space:  global
        .offset:         8
        .size:           8
        .value_kind:     global_buffer
      - .offset:         16
        .size:           8
        .value_kind:     by_value
      - .address_space:  global
        .offset:         24
        .size:           8
        .value_kind:     global_buffer
      - .offset:         32
        .size:           8
        .value_kind:     by_value
      - .address_space:  global
        .offset:         40
        .size:           8
        .value_kind:     global_buffer
      - .offset:         48
        .size:           4
        .value_kind:     by_value
      - .offset:         52
        .size:           4
        .value_kind:     by_value
      - .offset:         56
        .size:           4
        .value_kind:     by_value
      - .address_space:  global
        .offset:         64
        .size:           8
        .value_kind:     global_buffer
      - .address_space:  global
        .offset:         72
        .size:           8
        .value_kind:     global_buffer
      - .offset:         80
        .size:           8
        .value_kind:     by_value
      - .address_space:  global
        .offset:         88
        .size:           8
        .value_kind:     global_buffer
    .group_segment_fixed_size: 0
    .kernarg_segment_align: 8
    .kernarg_segment_size: 96
    .language:       OpenCL C
    .language_version:
      - 2
      - 0
    .max_flat_workgroup_size: 1024
    .name:           _ZN9rocsolver6v33100L10bdsqr_initI19rocblas_complex_numIfEfEEviPT0_lS5_lPiiS4_S4_S6_S5_lS6_
    .private_segment_fixed_size: 0
    .sgpr_count:     38
    .sgpr_spill_count: 0
    .symbol:         _ZN9rocsolver6v33100L10bdsqr_initI19rocblas_complex_numIfEfEEviPT0_lS5_lPiiS4_S4_S6_S5_lS6_.kd
    .uniform_work_group_size: 1
    .uses_dynamic_stack: false
    .vgpr_count:     10
    .vgpr_spill_count: 0
    .wavefront_size: 32
  - .args:
      - .offset:         0
        .size:           4
        .value_kind:     by_value
      - .address_space:  global
        .offset:         8
        .size:           8
        .value_kind:     global_buffer
      - .offset:         16
        .size:           4
        .value_kind:     by_value
      - .address_space:  global
        .offset:         24
        .size:           8
        .value_kind:     global_buffer
      - .offset:         32
        .size:           4
        .value_kind:     by_value
      - .offset:         40
        .size:           4
        .value_kind:     hidden_block_count_x
      - .offset:         44
        .size:           4
        .value_kind:     hidden_block_count_y
      - .offset:         48
        .size:           4
        .value_kind:     hidden_block_count_z
      - .offset:         52
        .size:           2
        .value_kind:     hidden_group_size_x
      - .offset:         54
        .size:           2
        .value_kind:     hidden_group_size_y
      - .offset:         56
        .size:           2
        .value_kind:     hidden_group_size_z
      - .offset:         58
        .size:           2
        .value_kind:     hidden_remainder_x
      - .offset:         60
        .size:           2
        .value_kind:     hidden_remainder_y
      - .offset:         62
        .size:           2
        .value_kind:     hidden_remainder_z
      - .offset:         80
        .size:           8
        .value_kind:     hidden_global_offset_x
      - .offset:         88
        .size:           8
        .value_kind:     hidden_global_offset_y
      - .offset:         96
        .size:           8
        .value_kind:     hidden_global_offset_z
      - .offset:         104
        .size:           2
        .value_kind:     hidden_grid_dims
    .group_segment_fixed_size: 0
    .kernarg_segment_align: 8
    .kernarg_segment_size: 296
    .language:       OpenCL C
    .language_version:
      - 2
      - 0
    .max_flat_workgroup_size: 1024
    .name:           _ZN9rocsolver6v33100L11swap_kernelI19rocblas_complex_numIfEiEEvT0_PT_S4_S6_S4_
    .private_segment_fixed_size: 0
    .sgpr_count:     18
    .sgpr_spill_count: 0
    .symbol:         _ZN9rocsolver6v33100L11swap_kernelI19rocblas_complex_numIfEiEEvT0_PT_S4_S6_S4_.kd
    .uniform_work_group_size: 1
    .uses_dynamic_stack: false
    .vgpr_count:     12
    .vgpr_spill_count: 0
    .wavefront_size: 32
  - .args:
      - .offset:         0
        .size:           4
        .value_kind:     by_value
      - .address_space:  global
        .offset:         8
        .size:           8
        .value_kind:     global_buffer
      - .offset:         16
        .size:           4
        .value_kind:     by_value
      - .address_space:  global
        .offset:         24
        .size:           8
        .value_kind:     global_buffer
      - .offset:         32
        .size:           4
        .value_kind:     by_value
      - .offset:         36
        .size:           4
        .value_kind:     by_value
      - .offset:         40
        .size:           4
        .value_kind:     by_value
      - .offset:         48
        .size:           4
        .value_kind:     hidden_block_count_x
      - .offset:         52
        .size:           4
        .value_kind:     hidden_block_count_y
      - .offset:         56
        .size:           4
        .value_kind:     hidden_block_count_z
      - .offset:         60
        .size:           2
        .value_kind:     hidden_group_size_x
      - .offset:         62
        .size:           2
        .value_kind:     hidden_group_size_y
      - .offset:         64
        .size:           2
        .value_kind:     hidden_group_size_z
      - .offset:         66
        .size:           2
        .value_kind:     hidden_remainder_x
      - .offset:         68
        .size:           2
        .value_kind:     hidden_remainder_y
      - .offset:         70
        .size:           2
        .value_kind:     hidden_remainder_z
      - .offset:         88
        .size:           8
        .value_kind:     hidden_global_offset_x
      - .offset:         96
        .size:           8
        .value_kind:     hidden_global_offset_y
      - .offset:         104
        .size:           8
        .value_kind:     hidden_global_offset_z
      - .offset:         112
        .size:           2
        .value_kind:     hidden_grid_dims
    .group_segment_fixed_size: 0
    .kernarg_segment_align: 8
    .kernarg_segment_size: 304
    .language:       OpenCL C
    .language_version:
      - 2
      - 0
    .max_flat_workgroup_size: 1024
    .name:           _ZN9rocsolver6v33100L10rot_kernelIf19rocblas_complex_numIfEiEEvT1_PT0_S4_S6_S4_T_S7_
    .private_segment_fixed_size: 0
    .sgpr_count:     22
    .sgpr_spill_count: 0
    .symbol:         _ZN9rocsolver6v33100L10rot_kernelIf19rocblas_complex_numIfEiEEvT1_PT0_S4_S6_S4_T_S7_.kd
    .uniform_work_group_size: 1
    .uses_dynamic_stack: false
    .vgpr_count:     20
    .vgpr_spill_count: 0
    .wavefront_size: 32
  - .args:
      - .offset:         0
        .size:           4
        .value_kind:     by_value
      - .offset:         4
        .size:           4
        .value_kind:     by_value
      - .offset:         8
        .size:           4
        .value_kind:     by_value
      - .offset:         12
        .size:           4
        .value_kind:     by_value
      - .offset:         16
        .size:           4
        .value_kind:     by_value
      - .address_space:  global
        .offset:         24
        .size:           8
        .value_kind:     global_buffer
      - .offset:         32
        .size:           8
        .value_kind:     by_value
      - .address_space:  global
        .offset:         40
        .size:           8
        .value_kind:     global_buffer
      - .offset:         48
        .size:           8
        .value_kind:     by_value
      - .address_space:  global
        .offset:         56
        .size:           8
        .value_kind:     global_buffer
      - .offset:         64
        .size:           8
        .value_kind:     by_value
      - .offset:         72
        .size:           4
        .value_kind:     by_value
      - .offset:         80
        .size:           8
        .value_kind:     by_value
      - .offset:         88
        .size:           4
        .value_kind:     by_value
      - .offset:         96
        .size:           4
        .value_kind:     hidden_block_count_x
      - .offset:         100
        .size:           4
        .value_kind:     hidden_block_count_y
      - .offset:         104
        .size:           4
        .value_kind:     hidden_block_count_z
      - .offset:         108
        .size:           2
        .value_kind:     hidden_group_size_x
      - .offset:         110
        .size:           2
        .value_kind:     hidden_group_size_y
      - .offset:         112
        .size:           2
        .value_kind:     hidden_group_size_z
      - .offset:         114
        .size:           2
        .value_kind:     hidden_remainder_x
      - .offset:         116
        .size:           2
        .value_kind:     hidden_remainder_y
      - .offset:         118
        .size:           2
        .value_kind:     hidden_remainder_z
      - .offset:         136
        .size:           8
        .value_kind:     hidden_global_offset_x
      - .offset:         144
        .size:           8
        .value_kind:     hidden_global_offset_y
      - .offset:         152
        .size:           8
        .value_kind:     hidden_global_offset_z
      - .offset:         160
        .size:           2
        .value_kind:     hidden_grid_dims
    .group_segment_fixed_size: 0
    .kernarg_segment_align: 8
    .kernarg_segment_size: 352
    .language:       OpenCL C
    .language_version:
      - 2
      - 0
    .max_flat_workgroup_size: 64
    .name:           _ZN9rocsolver6v33100L11lasr_kernelI19rocblas_complex_numIfEfPS3_iEEv13rocblas_side_14rocblas_pivot_15rocblas_direct_T2_S8_PT0_lSA_lT1_lS8_lS8_
    .private_segment_fixed_size: 0
    .sgpr_count:     93
    .sgpr_spill_count: 0
    .symbol:         _ZN9rocsolver6v33100L11lasr_kernelI19rocblas_complex_numIfEfPS3_iEEv13rocblas_side_14rocblas_pivot_15rocblas_direct_T2_S8_PT0_lSA_lT1_lS8_lS8_.kd
    .uniform_work_group_size: 1
    .uses_dynamic_stack: false
    .vgpr_count:     44
    .vgpr_spill_count: 0
    .wavefront_size: 32
  - .args:
      - .offset:         0
        .size:           4
        .value_kind:     by_value
      - .offset:         4
        .size:           4
        .value_kind:     by_value
      - .address_space:  global
        .offset:         8
        .size:           8
        .value_kind:     global_buffer
      - .offset:         16
        .size:           4
        .value_kind:     by_value
      - .offset:         24
        .size:           4
        .value_kind:     hidden_block_count_x
      - .offset:         28
        .size:           4
        .value_kind:     hidden_block_count_y
      - .offset:         32
        .size:           4
        .value_kind:     hidden_block_count_z
      - .offset:         36
        .size:           2
        .value_kind:     hidden_group_size_x
      - .offset:         38
        .size:           2
        .value_kind:     hidden_group_size_y
      - .offset:         40
        .size:           2
        .value_kind:     hidden_group_size_z
      - .offset:         42
        .size:           2
        .value_kind:     hidden_remainder_x
      - .offset:         44
        .size:           2
        .value_kind:     hidden_remainder_y
      - .offset:         46
        .size:           2
        .value_kind:     hidden_remainder_z
      - .offset:         64
        .size:           8
        .value_kind:     hidden_global_offset_x
      - .offset:         72
        .size:           8
        .value_kind:     hidden_global_offset_y
      - .offset:         80
        .size:           8
        .value_kind:     hidden_global_offset_z
      - .offset:         88
        .size:           2
        .value_kind:     hidden_grid_dims
    .group_segment_fixed_size: 0
    .kernarg_segment_align: 8
    .kernarg_segment_size: 280
    .language:       OpenCL C
    .language_version:
      - 2
      - 0
    .max_flat_workgroup_size: 1024
    .name:           _ZN9rocsolver6v33100L11scal_kernelIf19rocblas_complex_numIfEiEEvT1_T_PT0_S4_
    .private_segment_fixed_size: 0
    .sgpr_count:     14
    .sgpr_spill_count: 0
    .symbol:         _ZN9rocsolver6v33100L11scal_kernelIf19rocblas_complex_numIfEiEEvT1_T_PT0_S4_.kd
    .uniform_work_group_size: 1
    .uses_dynamic_stack: false
    .vgpr_count:     8
    .vgpr_spill_count: 0
    .wavefront_size: 32
  - .args:
      - .offset:         0
        .size:           4
        .value_kind:     by_value
      - .offset:         4
        .size:           4
        .value_kind:     by_value
      - .offset:         8
        .size:           4
        .value_kind:     by_value
      - .address_space:  global
        .offset:         16
        .size:           8
        .value_kind:     global_buffer
      - .offset:         24
        .size:           8
        .value_kind:     by_value
      - .address_space:  global
        .offset:         32
        .size:           8
        .value_kind:     global_buffer
      - .offset:         40
        .size:           8
        .value_kind:     by_value
      - .address_space:  global
        .offset:         48
        .size:           8
        .value_kind:     global_buffer
      - .offset:         56
        .size:           4
        .value_kind:     by_value
      - .offset:         60
        .size:           4
        .value_kind:     by_value
      - .offset:         64
        .size:           8
        .value_kind:     by_value
      - .address_space:  global
        .offset:         72
        .size:           8
        .value_kind:     global_buffer
      - .offset:         80
        .size:           4
        .value_kind:     by_value
      - .offset:         84
        .size:           4
        .value_kind:     by_value
      - .offset:         88
        .size:           8
        .value_kind:     by_value
      - .address_space:  global
        .offset:         96
        .size:           8
        .value_kind:     global_buffer
      - .address_space:  global
        .offset:         104
        .size:           8
        .value_kind:     global_buffer
      - .offset:         112
        .size:           8
        .value_kind:     by_value
      - .address_space:  global
        .offset:         120
        .size:           8
        .value_kind:     global_buffer
      - .offset:         128
        .size:           4
        .value_kind:     hidden_block_count_x
      - .offset:         132
        .size:           4
        .value_kind:     hidden_block_count_y
      - .offset:         136
        .size:           4
        .value_kind:     hidden_block_count_z
      - .offset:         140
        .size:           2
        .value_kind:     hidden_group_size_x
      - .offset:         142
        .size:           2
        .value_kind:     hidden_group_size_y
      - .offset:         144
        .size:           2
        .value_kind:     hidden_group_size_z
      - .offset:         146
        .size:           2
        .value_kind:     hidden_remainder_x
      - .offset:         148
        .size:           2
        .value_kind:     hidden_remainder_y
      - .offset:         150
        .size:           2
        .value_kind:     hidden_remainder_z
      - .offset:         168
        .size:           8
        .value_kind:     hidden_global_offset_x
      - .offset:         176
        .size:           8
        .value_kind:     hidden_global_offset_y
      - .offset:         184
        .size:           8
        .value_kind:     hidden_global_offset_z
      - .offset:         192
        .size:           2
        .value_kind:     hidden_grid_dims
    .group_segment_fixed_size: 0
    .kernarg_segment_align: 8
    .kernarg_segment_size: 384
    .language:       OpenCL C
    .language_version:
      - 2
      - 0
    .max_flat_workgroup_size: 1024
    .name:           _ZN9rocsolver6v33100L17bdsqr_lower2upperI19rocblas_complex_numIfEfPS3_S4_EEviiiPT0_lS6_lT1_iilT2_iilPiS6_lS9_
    .private_segment_fixed_size: 0
    .sgpr_count:     39
    .sgpr_spill_count: 0
    .symbol:         _ZN9rocsolver6v33100L17bdsqr_lower2upperI19rocblas_complex_numIfEfPS3_S4_EEviiiPT0_lS6_lT1_iilT2_iilPiS6_lS9_.kd
    .uniform_work_group_size: 1
    .uses_dynamic_stack: false
    .vgpr_count:     20
    .vgpr_spill_count: 0
    .wavefront_size: 32
  - .args:
      - .offset:         0
        .size:           4
        .value_kind:     by_value
      - .offset:         4
        .size:           4
        .value_kind:     by_value
      - .offset:         8
        .size:           4
        .value_kind:     by_value
      - .offset:         12
        .size:           4
        .value_kind:     by_value
      - .address_space:  global
        .offset:         16
        .size:           8
        .value_kind:     global_buffer
      - .offset:         24
        .size:           8
        .value_kind:     by_value
      - .address_space:  global
        .offset:         32
        .size:           8
        .value_kind:     global_buffer
      - .offset:         40
        .size:           8
        .value_kind:     by_value
      - .address_space:  global
        .offset:         48
        .size:           8
        .value_kind:     global_buffer
      - .offset:         56
        .size:           4
        .value_kind:     by_value
      - .offset:         60
        .size:           4
        .value_kind:     by_value
      - .offset:         64
        .size:           8
        .value_kind:     by_value
      - .address_space:  global
        .offset:         72
        .size:           8
        .value_kind:     global_buffer
      - .offset:         80
        .size:           4
        .value_kind:     by_value
      - .offset:         84
        .size:           4
        .value_kind:     by_value
      - .offset:         88
        .size:           8
        .value_kind:     by_value
      - .address_space:  global
        .offset:         96
        .size:           8
        .value_kind:     global_buffer
      - .offset:         104
        .size:           4
        .value_kind:     by_value
      - .offset:         108
        .size:           4
        .value_kind:     by_value
      - .offset:         112
        .size:           8
        .value_kind:     by_value
      - .offset:         120
        .size:           4
        .value_kind:     by_value
      - .offset:         124
        .size:           4
        .value_kind:     by_value
      - .offset:         128
        .size:           4
        .value_kind:     by_value
      - .offset:         132
        .size:           4
        .value_kind:     by_value
      - .offset:         136
        .size:           4
        .value_kind:     by_value
      - .address_space:  global
        .offset:         144
        .size:           8
        .value_kind:     global_buffer
      - .address_space:  global
        .offset:         152
        .size:           8
        .value_kind:     global_buffer
      - .offset:         160
        .size:           4
        .value_kind:     by_value
      - .offset:         168
        .size:           8
        .value_kind:     by_value
      - .address_space:  global
        .offset:         176
        .size:           8
        .value_kind:     global_buffer
      - .offset:         184
        .size:           4
        .value_kind:     hidden_block_count_x
      - .offset:         188
        .size:           4
        .value_kind:     hidden_block_count_y
      - .offset:         192
        .size:           4
        .value_kind:     hidden_block_count_z
      - .offset:         196
        .size:           2
        .value_kind:     hidden_group_size_x
      - .offset:         198
        .size:           2
        .value_kind:     hidden_group_size_y
      - .offset:         200
        .size:           2
        .value_kind:     hidden_group_size_z
      - .offset:         202
        .size:           2
        .value_kind:     hidden_remainder_x
      - .offset:         204
        .size:           2
        .value_kind:     hidden_remainder_y
      - .offset:         206
        .size:           2
        .value_kind:     hidden_remainder_z
      - .offset:         224
        .size:           8
        .value_kind:     hidden_global_offset_x
      - .offset:         232
        .size:           8
        .value_kind:     hidden_global_offset_y
      - .offset:         240
        .size:           8
        .value_kind:     hidden_global_offset_z
      - .offset:         248
        .size:           2
        .value_kind:     hidden_grid_dims
    .group_segment_fixed_size: 1040
    .kernarg_segment_align: 8
    .kernarg_segment_size: 440
    .language:       OpenCL C
    .language_version:
      - 2
      - 0
    .max_flat_workgroup_size: 1024
    .name:           _ZN9rocsolver6v33100L13bdsqr_computeILi256E19rocblas_complex_numIfEfPS3_S4_S4_EEviiiiPT1_lS6_lT2_iilT3_iilT4_iiliS5_S5_S5_S5_PiS6_ilSA_
    .private_segment_fixed_size: 0
    .sgpr_count:     107
    .sgpr_spill_count: 9
    .symbol:         _ZN9rocsolver6v33100L13bdsqr_computeILi256E19rocblas_complex_numIfEfPS3_S4_S4_EEviiiiPT1_lS6_lT2_iilT3_iilT4_iiliS5_S5_S5_S5_PiS6_ilSA_.kd
    .uniform_work_group_size: 1
    .uses_dynamic_stack: false
    .vgpr_count:     33
    .vgpr_spill_count: 0
    .wavefront_size: 32
  - .args:
      - .offset:         0
        .size:           4
        .value_kind:     by_value
      - .offset:         4
        .size:           4
        .value_kind:     by_value
      - .offset:         8
        .size:           4
        .value_kind:     by_value
      - .offset:         12
        .size:           4
        .value_kind:     by_value
      - .address_space:  global
        .offset:         16
        .size:           8
        .value_kind:     global_buffer
      - .offset:         24
        .size:           4
        .value_kind:     by_value
      - .offset:         28
        .size:           4
        .value_kind:     by_value
      - .offset:         32
        .size:           8
        .value_kind:     by_value
      - .address_space:  global
        .offset:         40
        .size:           8
        .value_kind:     global_buffer
      - .offset:         48
        .size:           4
        .value_kind:     by_value
      - .offset:         52
        .size:           4
        .value_kind:     by_value
      - .offset:         56
        .size:           8
        .value_kind:     by_value
      - .address_space:  global
        .offset:         64
        .size:           8
        .value_kind:     global_buffer
      - .offset:         72
        .size:           4
        .value_kind:     by_value
      - .offset:         76
        .size:           4
        .value_kind:     by_value
      - .offset:         80
        .size:           8
        .value_kind:     by_value
      - .offset:         88
        .size:           4
        .value_kind:     by_value
      - .address_space:  global
        .offset:         96
        .size:           8
        .value_kind:     global_buffer
      - .address_space:  global
        .offset:         104
        .size:           8
        .value_kind:     global_buffer
      - .offset:         112
        .size:           4
        .value_kind:     by_value
      - .offset:         120
        .size:           8
        .value_kind:     by_value
      - .address_space:  global
        .offset:         128
        .size:           8
        .value_kind:     global_buffer
      - .offset:         136
        .size:           4
        .value_kind:     hidden_block_count_x
      - .offset:         140
        .size:           4
        .value_kind:     hidden_block_count_y
      - .offset:         144
        .size:           4
        .value_kind:     hidden_block_count_z
      - .offset:         148
        .size:           2
        .value_kind:     hidden_group_size_x
      - .offset:         150
        .size:           2
        .value_kind:     hidden_group_size_y
      - .offset:         152
        .size:           2
        .value_kind:     hidden_group_size_z
      - .offset:         154
        .size:           2
        .value_kind:     hidden_remainder_x
      - .offset:         156
        .size:           2
        .value_kind:     hidden_remainder_y
      - .offset:         158
        .size:           2
        .value_kind:     hidden_remainder_z
      - .offset:         176
        .size:           8
        .value_kind:     hidden_global_offset_x
      - .offset:         184
        .size:           8
        .value_kind:     hidden_global_offset_y
      - .offset:         192
        .size:           8
        .value_kind:     hidden_global_offset_z
      - .offset:         200
        .size:           2
        .value_kind:     hidden_grid_dims
    .group_segment_fixed_size: 0
    .kernarg_segment_align: 8
    .kernarg_segment_size: 392
    .language:       OpenCL C
    .language_version:
      - 2
      - 0
    .max_flat_workgroup_size: 1024
    .name:           _ZN9rocsolver6v33100L12bdsqr_rotateI19rocblas_complex_numIfEfPS3_S4_S4_EEviiiiT1_iilT2_iilT3_iiliPiPT0_ilS8_
    .private_segment_fixed_size: 0
    .sgpr_count:     46
    .sgpr_spill_count: 0
    .symbol:         _ZN9rocsolver6v33100L12bdsqr_rotateI19rocblas_complex_numIfEfPS3_S4_S4_EEviiiiT1_iilT2_iilT3_iiliPiPT0_ilS8_.kd
    .uniform_work_group_size: 1
    .uses_dynamic_stack: false
    .vgpr_count:     20
    .vgpr_spill_count: 0
    .wavefront_size: 32
  - .args:
      - .offset:         0
        .size:           4
        .value_kind:     by_value
      - .address_space:  global
        .offset:         8
        .size:           8
        .value_kind:     global_buffer
      - .offset:         16
        .size:           8
        .value_kind:     by_value
      - .address_space:  global
        .offset:         24
        .size:           8
        .value_kind:     global_buffer
      - .address_space:  global
        .offset:         32
        .size:           8
        .value_kind:     global_buffer
      - .offset:         40
        .size:           8
        .value_kind:     by_value
      - .address_space:  global
        .offset:         48
        .size:           8
        .value_kind:     global_buffer
      - .offset:         56
        .size:           4
        .value_kind:     hidden_block_count_x
      - .offset:         60
        .size:           4
        .value_kind:     hidden_block_count_y
      - .offset:         64
        .size:           4
        .value_kind:     hidden_block_count_z
      - .offset:         68
        .size:           2
        .value_kind:     hidden_group_size_x
      - .offset:         70
        .size:           2
        .value_kind:     hidden_group_size_y
      - .offset:         72
        .size:           2
        .value_kind:     hidden_group_size_z
      - .offset:         74
        .size:           2
        .value_kind:     hidden_remainder_x
      - .offset:         76
        .size:           2
        .value_kind:     hidden_remainder_y
      - .offset:         78
        .size:           2
        .value_kind:     hidden_remainder_z
      - .offset:         96
        .size:           8
        .value_kind:     hidden_global_offset_x
      - .offset:         104
        .size:           8
        .value_kind:     hidden_global_offset_y
      - .offset:         112
        .size:           8
        .value_kind:     hidden_global_offset_z
      - .offset:         120
        .size:           2
        .value_kind:     hidden_grid_dims
    .group_segment_fixed_size: 0
    .kernarg_segment_align: 8
    .kernarg_segment_size: 312
    .language:       OpenCL C
    .language_version:
      - 2
      - 0
    .max_flat_workgroup_size: 1024
    .name:           _ZN9rocsolver6v33100L22bdsqr_update_endpointsI19rocblas_complex_numIfEfEEviPT0_lPiS5_lS6_
    .private_segment_fixed_size: 0
    .sgpr_count:     26
    .sgpr_spill_count: 0
    .symbol:         _ZN9rocsolver6v33100L22bdsqr_update_endpointsI19rocblas_complex_numIfEfEEviPT0_lPiS5_lS6_.kd
    .uniform_work_group_size: 1
    .uses_dynamic_stack: false
    .vgpr_count:     8
    .vgpr_spill_count: 0
    .wavefront_size: 32
  - .args:
      - .offset:         0
        .size:           4
        .value_kind:     by_value
      - .offset:         4
        .size:           4
        .value_kind:     by_value
      - .address_space:  global
        .offset:         8
        .size:           8
        .value_kind:     global_buffer
      - .address_space:  global
        .offset:         16
        .size:           8
        .value_kind:     global_buffer
      - .offset:         24
        .size:           8
        .value_kind:     by_value
      - .address_space:  global
        .offset:         32
        .size:           8
        .value_kind:     global_buffer
    .group_segment_fixed_size: 0
    .kernarg_segment_align: 8
    .kernarg_segment_size: 40
    .language:       OpenCL C
    .language_version:
      - 2
      - 0
    .max_flat_workgroup_size: 1024
    .name:           _ZN9rocsolver6v33100L19bdsqr_chk_completedI19rocblas_complex_numIfEfEEviiPiPT0_lS4_
    .private_segment_fixed_size: 0
    .sgpr_count:     18
    .sgpr_spill_count: 0
    .symbol:         _ZN9rocsolver6v33100L19bdsqr_chk_completedI19rocblas_complex_numIfEfEEviiPiPT0_lS4_.kd
    .uniform_work_group_size: 1
    .uses_dynamic_stack: false
    .vgpr_count:     4
    .vgpr_spill_count: 0
    .wavefront_size: 32
  - .args:
      - .offset:         0
        .size:           4
        .value_kind:     by_value
      - .offset:         4
        .size:           4
        .value_kind:     by_value
      - .offset:         8
        .size:           4
        .value_kind:     by_value
      - .offset:         12
        .size:           4
        .value_kind:     by_value
      - .address_space:  global
        .offset:         16
        .size:           8
        .value_kind:     global_buffer
      - .offset:         24
        .size:           8
        .value_kind:     by_value
      - .address_space:  global
        .offset:         32
        .size:           8
        .value_kind:     global_buffer
      - .offset:         40
        .size:           8
        .value_kind:     by_value
      - .address_space:  global
        .offset:         48
        .size:           8
        .value_kind:     global_buffer
      - .offset:         56
        .size:           4
        .value_kind:     by_value
      - .offset:         60
        .size:           4
        .value_kind:     by_value
      - .offset:         64
        .size:           8
        .value_kind:     by_value
      - .address_space:  global
        .offset:         72
        .size:           8
        .value_kind:     global_buffer
      - .offset:         80
        .size:           4
        .value_kind:     by_value
      - .offset:         84
        .size:           4
        .value_kind:     by_value
      - .offset:         88
        .size:           8
        .value_kind:     by_value
      - .address_space:  global
        .offset:         96
        .size:           8
        .value_kind:     global_buffer
      - .offset:         104
        .size:           4
        .value_kind:     by_value
      - .offset:         108
        .size:           4
        .value_kind:     by_value
      - .offset:         112
        .size:           8
        .value_kind:     by_value
      - .address_space:  global
        .offset:         120
        .size:           8
        .value_kind:     global_buffer
      - .address_space:  global
        .offset:         128
        .size:           8
        .value_kind:     global_buffer
      - .address_space:  global
        .offset:         136
        .size:           8
        .value_kind:     global_buffer
      - .offset:         144
        .size:           4
        .value_kind:     hidden_block_count_x
      - .offset:         148
        .size:           4
        .value_kind:     hidden_block_count_y
      - .offset:         152
        .size:           4
        .value_kind:     hidden_block_count_z
      - .offset:         156
        .size:           2
        .value_kind:     hidden_group_size_x
      - .offset:         158
        .size:           2
        .value_kind:     hidden_group_size_y
      - .offset:         160
        .size:           2
        .value_kind:     hidden_group_size_z
      - .offset:         162
        .size:           2
        .value_kind:     hidden_remainder_x
      - .offset:         164
        .size:           2
        .value_kind:     hidden_remainder_y
      - .offset:         166
        .size:           2
        .value_kind:     hidden_remainder_z
      - .offset:         184
        .size:           8
        .value_kind:     hidden_global_offset_x
      - .offset:         192
        .size:           8
        .value_kind:     hidden_global_offset_y
      - .offset:         200
        .size:           8
        .value_kind:     hidden_global_offset_z
      - .offset:         208
        .size:           2
        .value_kind:     hidden_grid_dims
      - .offset:         224
        .size:           8
        .value_kind:     hidden_hostcall_buffer
    .group_segment_fixed_size: 0
    .kernarg_segment_align: 8
    .kernarg_segment_size: 400
    .language:       OpenCL C
    .language_version:
      - 2
      - 0
    .max_flat_workgroup_size: 1024
    .name:           _ZN9rocsolver6v33100L14bdsqr_finalizeI19rocblas_complex_numIfEfPS3_S4_S4_EEviiiiPT0_lS6_lT1_iilT2_iilT3_iilPiSA_SA_
    .private_segment_fixed_size: 64
    .sgpr_count:     62
    .sgpr_spill_count: 0
    .symbol:         _ZN9rocsolver6v33100L14bdsqr_finalizeI19rocblas_complex_numIfEfPS3_S4_S4_EEviiiiPT0_lS6_lT1_iilT2_iilT3_iilPiSA_SA_.kd
    .uniform_work_group_size: 1
    .uses_dynamic_stack: false
    .vgpr_count:     49
    .vgpr_spill_count: 0
    .wavefront_size: 32
  - .args:
      - .offset:         0
        .size:           4
        .value_kind:     by_value
      - .address_space:  global
        .offset:         8
        .size:           8
        .value_kind:     global_buffer
      - .offset:         16
        .size:           8
        .value_kind:     by_value
      - .address_space:  global
        .offset:         24
        .size:           8
        .value_kind:     global_buffer
      - .offset:         32
        .size:           8
        .value_kind:     by_value
      - .address_space:  global
        .offset:         40
        .size:           8
        .value_kind:     global_buffer
      - .offset:         48
        .size:           4
        .value_kind:     by_value
      - .offset:         56
        .size:           8
        .value_kind:     by_value
      - .offset:         64
        .size:           8
        .value_kind:     by_value
      - .address_space:  global
        .offset:         72
        .size:           8
        .value_kind:     global_buffer
      - .address_space:  global
        .offset:         80
        .size:           8
        .value_kind:     global_buffer
      - .offset:         88
        .size:           8
        .value_kind:     by_value
      - .address_space:  global
        .offset:         96
        .size:           8
        .value_kind:     global_buffer
    .group_segment_fixed_size: 0
    .kernarg_segment_align: 8
    .kernarg_segment_size: 104
    .language:       OpenCL C
    .language_version:
      - 2
      - 0
    .max_flat_workgroup_size: 1024
    .name:           _ZN9rocsolver6v33100L10bdsqr_initI19rocblas_complex_numIdEdEEviPT0_lS5_lPiiS4_S4_S6_S5_lS6_
    .private_segment_fixed_size: 0
    .sgpr_count:     46
    .sgpr_spill_count: 0
    .symbol:         _ZN9rocsolver6v33100L10bdsqr_initI19rocblas_complex_numIdEdEEviPT0_lS5_lPiiS4_S4_S6_S5_lS6_.kd
    .uniform_work_group_size: 1
    .uses_dynamic_stack: false
    .vgpr_count:     14
    .vgpr_spill_count: 0
    .wavefront_size: 32
  - .args:
      - .offset:         0
        .size:           4
        .value_kind:     by_value
      - .address_space:  global
        .offset:         8
        .size:           8
        .value_kind:     global_buffer
      - .offset:         16
        .size:           4
        .value_kind:     by_value
      - .address_space:  global
        .offset:         24
        .size:           8
        .value_kind:     global_buffer
      - .offset:         32
        .size:           4
        .value_kind:     by_value
      - .offset:         40
        .size:           4
        .value_kind:     hidden_block_count_x
      - .offset:         44
        .size:           4
        .value_kind:     hidden_block_count_y
      - .offset:         48
        .size:           4
        .value_kind:     hidden_block_count_z
      - .offset:         52
        .size:           2
        .value_kind:     hidden_group_size_x
      - .offset:         54
        .size:           2
        .value_kind:     hidden_group_size_y
      - .offset:         56
        .size:           2
        .value_kind:     hidden_group_size_z
      - .offset:         58
        .size:           2
        .value_kind:     hidden_remainder_x
      - .offset:         60
        .size:           2
        .value_kind:     hidden_remainder_y
      - .offset:         62
        .size:           2
        .value_kind:     hidden_remainder_z
      - .offset:         80
        .size:           8
        .value_kind:     hidden_global_offset_x
      - .offset:         88
        .size:           8
        .value_kind:     hidden_global_offset_y
      - .offset:         96
        .size:           8
        .value_kind:     hidden_global_offset_z
      - .offset:         104
        .size:           2
        .value_kind:     hidden_grid_dims
    .group_segment_fixed_size: 32768
    .kernarg_segment_align: 8
    .kernarg_segment_size: 296
    .language:       OpenCL C
    .language_version:
      - 2
      - 0
    .max_flat_workgroup_size: 1024
    .name:           _ZN9rocsolver6v33100L11swap_kernelI19rocblas_complex_numIdEiEEvT0_PT_S4_S6_S4_
    .private_segment_fixed_size: 0
    .sgpr_count:     18
    .sgpr_spill_count: 0
    .symbol:         _ZN9rocsolver6v33100L11swap_kernelI19rocblas_complex_numIdEiEEvT0_PT_S4_S6_S4_.kd
    .uniform_work_group_size: 1
    .uses_dynamic_stack: false
    .vgpr_count:     16
    .vgpr_spill_count: 0
    .wavefront_size: 32
  - .args:
      - .offset:         0
        .size:           4
        .value_kind:     by_value
      - .address_space:  global
        .offset:         8
        .size:           8
        .value_kind:     global_buffer
      - .offset:         16
        .size:           4
        .value_kind:     by_value
      - .address_space:  global
        .offset:         24
        .size:           8
        .value_kind:     global_buffer
      - .offset:         32
        .size:           4
        .value_kind:     by_value
      - .offset:         40
        .size:           8
        .value_kind:     by_value
      - .offset:         48
        .size:           8
        .value_kind:     by_value
      - .offset:         56
        .size:           4
        .value_kind:     hidden_block_count_x
      - .offset:         60
        .size:           4
        .value_kind:     hidden_block_count_y
      - .offset:         64
        .size:           4
        .value_kind:     hidden_block_count_z
      - .offset:         68
        .size:           2
        .value_kind:     hidden_group_size_x
      - .offset:         70
        .size:           2
        .value_kind:     hidden_group_size_y
      - .offset:         72
        .size:           2
        .value_kind:     hidden_group_size_z
      - .offset:         74
        .size:           2
        .value_kind:     hidden_remainder_x
      - .offset:         76
        .size:           2
        .value_kind:     hidden_remainder_y
      - .offset:         78
        .size:           2
        .value_kind:     hidden_remainder_z
      - .offset:         96
        .size:           8
        .value_kind:     hidden_global_offset_x
      - .offset:         104
        .size:           8
        .value_kind:     hidden_global_offset_y
      - .offset:         112
        .size:           8
        .value_kind:     hidden_global_offset_z
      - .offset:         120
        .size:           2
        .value_kind:     hidden_grid_dims
    .group_segment_fixed_size: 0
    .kernarg_segment_align: 8
    .kernarg_segment_size: 312
    .language:       OpenCL C
    .language_version:
      - 2
      - 0
    .max_flat_workgroup_size: 1024
    .name:           _ZN9rocsolver6v33100L10rot_kernelId19rocblas_complex_numIdEiEEvT1_PT0_S4_S6_S4_T_S7_
    .private_segment_fixed_size: 0
    .sgpr_count:     22
    .sgpr_spill_count: 0
    .symbol:         _ZN9rocsolver6v33100L10rot_kernelId19rocblas_complex_numIdEiEEvT1_PT0_S4_S6_S4_T_S7_.kd
    .uniform_work_group_size: 1
    .uses_dynamic_stack: false
    .vgpr_count:     24
    .vgpr_spill_count: 0
    .wavefront_size: 32
  - .args:
      - .offset:         0
        .size:           4
        .value_kind:     by_value
      - .offset:         4
        .size:           4
        .value_kind:     by_value
      - .offset:         8
        .size:           4
        .value_kind:     by_value
      - .offset:         12
        .size:           4
        .value_kind:     by_value
      - .offset:         16
        .size:           4
        .value_kind:     by_value
      - .address_space:  global
        .offset:         24
        .size:           8
        .value_kind:     global_buffer
      - .offset:         32
        .size:           8
        .value_kind:     by_value
      - .address_space:  global
        .offset:         40
        .size:           8
        .value_kind:     global_buffer
      - .offset:         48
        .size:           8
        .value_kind:     by_value
      - .address_space:  global
        .offset:         56
        .size:           8
        .value_kind:     global_buffer
      - .offset:         64
        .size:           8
        .value_kind:     by_value
      - .offset:         72
        .size:           4
        .value_kind:     by_value
      - .offset:         80
        .size:           8
        .value_kind:     by_value
      - .offset:         88
        .size:           4
        .value_kind:     by_value
      - .offset:         96
        .size:           4
        .value_kind:     hidden_block_count_x
      - .offset:         100
        .size:           4
        .value_kind:     hidden_block_count_y
      - .offset:         104
        .size:           4
        .value_kind:     hidden_block_count_z
      - .offset:         108
        .size:           2
        .value_kind:     hidden_group_size_x
      - .offset:         110
        .size:           2
        .value_kind:     hidden_group_size_y
      - .offset:         112
        .size:           2
        .value_kind:     hidden_group_size_z
      - .offset:         114
        .size:           2
        .value_kind:     hidden_remainder_x
      - .offset:         116
        .size:           2
        .value_kind:     hidden_remainder_y
      - .offset:         118
        .size:           2
        .value_kind:     hidden_remainder_z
      - .offset:         136
        .size:           8
        .value_kind:     hidden_global_offset_x
      - .offset:         144
        .size:           8
        .value_kind:     hidden_global_offset_y
      - .offset:         152
        .size:           8
        .value_kind:     hidden_global_offset_z
      - .offset:         160
        .size:           2
        .value_kind:     hidden_grid_dims
    .group_segment_fixed_size: 0
    .kernarg_segment_align: 8
    .kernarg_segment_size: 352
    .language:       OpenCL C
    .language_version:
      - 2
      - 0
    .max_flat_workgroup_size: 64
    .name:           _ZN9rocsolver6v33100L11lasr_kernelI19rocblas_complex_numIdEdPS3_iEEv13rocblas_side_14rocblas_pivot_15rocblas_direct_T2_S8_PT0_lSA_lT1_lS8_lS8_
    .private_segment_fixed_size: 0
    .sgpr_count:     93
    .sgpr_spill_count: 0
    .symbol:         _ZN9rocsolver6v33100L11lasr_kernelI19rocblas_complex_numIdEdPS3_iEEv13rocblas_side_14rocblas_pivot_15rocblas_direct_T2_S8_PT0_lSA_lT1_lS8_lS8_.kd
    .uniform_work_group_size: 1
    .uses_dynamic_stack: false
    .vgpr_count:     54
    .vgpr_spill_count: 0
    .wavefront_size: 32
  - .args:
      - .offset:         0
        .size:           4
        .value_kind:     by_value
      - .offset:         8
        .size:           8
        .value_kind:     by_value
      - .address_space:  global
        .offset:         16
        .size:           8
        .value_kind:     global_buffer
      - .offset:         24
        .size:           4
        .value_kind:     by_value
      - .offset:         32
        .size:           4
        .value_kind:     hidden_block_count_x
      - .offset:         36
        .size:           4
        .value_kind:     hidden_block_count_y
      - .offset:         40
        .size:           4
        .value_kind:     hidden_block_count_z
      - .offset:         44
        .size:           2
        .value_kind:     hidden_group_size_x
      - .offset:         46
        .size:           2
        .value_kind:     hidden_group_size_y
      - .offset:         48
        .size:           2
        .value_kind:     hidden_group_size_z
      - .offset:         50
        .size:           2
        .value_kind:     hidden_remainder_x
      - .offset:         52
        .size:           2
        .value_kind:     hidden_remainder_y
      - .offset:         54
        .size:           2
        .value_kind:     hidden_remainder_z
      - .offset:         72
        .size:           8
        .value_kind:     hidden_global_offset_x
      - .offset:         80
        .size:           8
        .value_kind:     hidden_global_offset_y
      - .offset:         88
        .size:           8
        .value_kind:     hidden_global_offset_z
      - .offset:         96
        .size:           2
        .value_kind:     hidden_grid_dims
    .group_segment_fixed_size: 0
    .kernarg_segment_align: 8
    .kernarg_segment_size: 288
    .language:       OpenCL C
    .language_version:
      - 2
      - 0
    .max_flat_workgroup_size: 1024
    .name:           _ZN9rocsolver6v33100L11scal_kernelId19rocblas_complex_numIdEiEEvT1_T_PT0_S4_
    .private_segment_fixed_size: 0
    .sgpr_count:     13
    .sgpr_spill_count: 0
    .symbol:         _ZN9rocsolver6v33100L11scal_kernelId19rocblas_complex_numIdEiEEvT1_T_PT0_S4_.kd
    .uniform_work_group_size: 1
    .uses_dynamic_stack: false
    .vgpr_count:     8
    .vgpr_spill_count: 0
    .wavefront_size: 32
  - .args:
      - .offset:         0
        .size:           4
        .value_kind:     by_value
      - .offset:         4
        .size:           4
        .value_kind:     by_value
      - .offset:         8
        .size:           4
        .value_kind:     by_value
      - .address_space:  global
        .offset:         16
        .size:           8
        .value_kind:     global_buffer
      - .offset:         24
        .size:           8
        .value_kind:     by_value
      - .address_space:  global
        .offset:         32
        .size:           8
        .value_kind:     global_buffer
      - .offset:         40
        .size:           8
        .value_kind:     by_value
      - .address_space:  global
        .offset:         48
        .size:           8
        .value_kind:     global_buffer
      - .offset:         56
        .size:           4
        .value_kind:     by_value
      - .offset:         60
        .size:           4
        .value_kind:     by_value
      - .offset:         64
        .size:           8
        .value_kind:     by_value
      - .address_space:  global
        .offset:         72
        .size:           8
        .value_kind:     global_buffer
      - .offset:         80
        .size:           4
        .value_kind:     by_value
      - .offset:         84
        .size:           4
        .value_kind:     by_value
      - .offset:         88
        .size:           8
        .value_kind:     by_value
      - .address_space:  global
        .offset:         96
        .size:           8
        .value_kind:     global_buffer
      - .address_space:  global
        .offset:         104
        .size:           8
        .value_kind:     global_buffer
      - .offset:         112
        .size:           8
        .value_kind:     by_value
      - .address_space:  global
        .offset:         120
        .size:           8
        .value_kind:     global_buffer
      - .offset:         128
        .size:           4
        .value_kind:     hidden_block_count_x
      - .offset:         132
        .size:           4
        .value_kind:     hidden_block_count_y
      - .offset:         136
        .size:           4
        .value_kind:     hidden_block_count_z
      - .offset:         140
        .size:           2
        .value_kind:     hidden_group_size_x
      - .offset:         142
        .size:           2
        .value_kind:     hidden_group_size_y
      - .offset:         144
        .size:           2
        .value_kind:     hidden_group_size_z
      - .offset:         146
        .size:           2
        .value_kind:     hidden_remainder_x
      - .offset:         148
        .size:           2
        .value_kind:     hidden_remainder_y
      - .offset:         150
        .size:           2
        .value_kind:     hidden_remainder_z
      - .offset:         168
        .size:           8
        .value_kind:     hidden_global_offset_x
      - .offset:         176
        .size:           8
        .value_kind:     hidden_global_offset_y
      - .offset:         184
        .size:           8
        .value_kind:     hidden_global_offset_z
      - .offset:         192
        .size:           2
        .value_kind:     hidden_grid_dims
    .group_segment_fixed_size: 0
    .kernarg_segment_align: 8
    .kernarg_segment_size: 384
    .language:       OpenCL C
    .language_version:
      - 2
      - 0
    .max_flat_workgroup_size: 1024
    .name:           _ZN9rocsolver6v33100L17bdsqr_lower2upperI19rocblas_complex_numIdEdPS3_S4_EEviiiPT0_lS6_lT1_iilT2_iilPiS6_lS9_
    .private_segment_fixed_size: 0
    .sgpr_count:     38
    .sgpr_spill_count: 0
    .symbol:         _ZN9rocsolver6v33100L17bdsqr_lower2upperI19rocblas_complex_numIdEdPS3_S4_EEviiiPT0_lS6_lT1_iilT2_iilPiS6_lS9_.kd
    .uniform_work_group_size: 1
    .uses_dynamic_stack: false
    .vgpr_count:     24
    .vgpr_spill_count: 0
    .wavefront_size: 32
  - .args:
      - .offset:         0
        .size:           4
        .value_kind:     by_value
      - .offset:         4
        .size:           4
        .value_kind:     by_value
      - .offset:         8
        .size:           4
        .value_kind:     by_value
      - .offset:         12
        .size:           4
        .value_kind:     by_value
      - .address_space:  global
        .offset:         16
        .size:           8
        .value_kind:     global_buffer
      - .offset:         24
        .size:           8
        .value_kind:     by_value
      - .address_space:  global
        .offset:         32
        .size:           8
        .value_kind:     global_buffer
      - .offset:         40
        .size:           8
        .value_kind:     by_value
      - .address_space:  global
        .offset:         48
        .size:           8
        .value_kind:     global_buffer
      - .offset:         56
        .size:           4
        .value_kind:     by_value
      - .offset:         60
        .size:           4
        .value_kind:     by_value
      - .offset:         64
        .size:           8
        .value_kind:     by_value
      - .address_space:  global
        .offset:         72
        .size:           8
        .value_kind:     global_buffer
      - .offset:         80
        .size:           4
        .value_kind:     by_value
      - .offset:         84
        .size:           4
        .value_kind:     by_value
      - .offset:         88
        .size:           8
        .value_kind:     by_value
      - .address_space:  global
        .offset:         96
        .size:           8
        .value_kind:     global_buffer
      - .offset:         104
        .size:           4
        .value_kind:     by_value
      - .offset:         108
        .size:           4
        .value_kind:     by_value
      - .offset:         112
        .size:           8
        .value_kind:     by_value
      - .offset:         120
        .size:           4
        .value_kind:     by_value
      - .offset:         128
        .size:           8
        .value_kind:     by_value
      - .offset:         136
        .size:           8
        .value_kind:     by_value
      - .offset:         144
        .size:           8
        .value_kind:     by_value
      - .offset:         152
        .size:           8
        .value_kind:     by_value
      - .address_space:  global
        .offset:         160
        .size:           8
        .value_kind:     global_buffer
      - .address_space:  global
        .offset:         168
        .size:           8
        .value_kind:     global_buffer
      - .offset:         176
        .size:           4
        .value_kind:     by_value
      - .offset:         184
        .size:           8
        .value_kind:     by_value
      - .address_space:  global
        .offset:         192
        .size:           8
        .value_kind:     global_buffer
      - .offset:         200
        .size:           4
        .value_kind:     hidden_block_count_x
      - .offset:         204
        .size:           4
        .value_kind:     hidden_block_count_y
      - .offset:         208
        .size:           4
        .value_kind:     hidden_block_count_z
      - .offset:         212
        .size:           2
        .value_kind:     hidden_group_size_x
      - .offset:         214
        .size:           2
        .value_kind:     hidden_group_size_y
      - .offset:         216
        .size:           2
        .value_kind:     hidden_group_size_z
      - .offset:         218
        .size:           2
        .value_kind:     hidden_remainder_x
      - .offset:         220
        .size:           2
        .value_kind:     hidden_remainder_y
      - .offset:         222
        .size:           2
        .value_kind:     hidden_remainder_z
      - .offset:         240
        .size:           8
        .value_kind:     hidden_global_offset_x
      - .offset:         248
        .size:           8
        .value_kind:     hidden_global_offset_y
      - .offset:         256
        .size:           8
        .value_kind:     hidden_global_offset_z
      - .offset:         264
        .size:           2
        .value_kind:     hidden_grid_dims
    .group_segment_fixed_size: 2072
    .kernarg_segment_align: 8
    .kernarg_segment_size: 456
    .language:       OpenCL C
    .language_version:
      - 2
      - 0
    .max_flat_workgroup_size: 1024
    .name:           _ZN9rocsolver6v33100L13bdsqr_computeILi256E19rocblas_complex_numIdEdPS3_S4_S4_EEviiiiPT1_lS6_lT2_iilT3_iilT4_iiliS5_S5_S5_S5_PiS6_ilSA_
    .private_segment_fixed_size: 0
    .sgpr_count:     107
    .sgpr_spill_count: 10
    .symbol:         _ZN9rocsolver6v33100L13bdsqr_computeILi256E19rocblas_complex_numIdEdPS3_S4_S4_EEviiiiPT1_lS6_lT2_iilT3_iilT4_iiliS5_S5_S5_S5_PiS6_ilSA_.kd
    .uniform_work_group_size: 1
    .uses_dynamic_stack: false
    .vgpr_count:     41
    .vgpr_spill_count: 0
    .wavefront_size: 32
  - .args:
      - .offset:         0
        .size:           4
        .value_kind:     by_value
      - .offset:         4
        .size:           4
        .value_kind:     by_value
      - .offset:         8
        .size:           4
        .value_kind:     by_value
      - .offset:         12
        .size:           4
        .value_kind:     by_value
      - .address_space:  global
        .offset:         16
        .size:           8
        .value_kind:     global_buffer
      - .offset:         24
        .size:           4
        .value_kind:     by_value
      - .offset:         28
        .size:           4
        .value_kind:     by_value
      - .offset:         32
        .size:           8
        .value_kind:     by_value
      - .address_space:  global
        .offset:         40
        .size:           8
        .value_kind:     global_buffer
      - .offset:         48
        .size:           4
        .value_kind:     by_value
      - .offset:         52
        .size:           4
        .value_kind:     by_value
      - .offset:         56
        .size:           8
        .value_kind:     by_value
      - .address_space:  global
        .offset:         64
        .size:           8
        .value_kind:     global_buffer
      - .offset:         72
        .size:           4
        .value_kind:     by_value
      - .offset:         76
        .size:           4
        .value_kind:     by_value
      - .offset:         80
        .size:           8
        .value_kind:     by_value
      - .offset:         88
        .size:           4
        .value_kind:     by_value
      - .address_space:  global
        .offset:         96
        .size:           8
        .value_kind:     global_buffer
      - .address_space:  global
        .offset:         104
        .size:           8
        .value_kind:     global_buffer
      - .offset:         112
        .size:           4
        .value_kind:     by_value
      - .offset:         120
        .size:           8
        .value_kind:     by_value
      - .address_space:  global
        .offset:         128
        .size:           8
        .value_kind:     global_buffer
      - .offset:         136
        .size:           4
        .value_kind:     hidden_block_count_x
      - .offset:         140
        .size:           4
        .value_kind:     hidden_block_count_y
      - .offset:         144
        .size:           4
        .value_kind:     hidden_block_count_z
      - .offset:         148
        .size:           2
        .value_kind:     hidden_group_size_x
      - .offset:         150
        .size:           2
        .value_kind:     hidden_group_size_y
      - .offset:         152
        .size:           2
        .value_kind:     hidden_group_size_z
      - .offset:         154
        .size:           2
        .value_kind:     hidden_remainder_x
      - .offset:         156
        .size:           2
        .value_kind:     hidden_remainder_y
      - .offset:         158
        .size:           2
        .value_kind:     hidden_remainder_z
      - .offset:         176
        .size:           8
        .value_kind:     hidden_global_offset_x
      - .offset:         184
        .size:           8
        .value_kind:     hidden_global_offset_y
      - .offset:         192
        .size:           8
        .value_kind:     hidden_global_offset_z
      - .offset:         200
        .size:           2
        .value_kind:     hidden_grid_dims
    .group_segment_fixed_size: 0
    .kernarg_segment_align: 8
    .kernarg_segment_size: 392
    .language:       OpenCL C
    .language_version:
      - 2
      - 0
    .max_flat_workgroup_size: 1024
    .name:           _ZN9rocsolver6v33100L12bdsqr_rotateI19rocblas_complex_numIdEdPS3_S4_S4_EEviiiiT1_iilT2_iilT3_iiliPiPT0_ilS8_
    .private_segment_fixed_size: 0
    .sgpr_count:     44
    .sgpr_spill_count: 0
    .symbol:         _ZN9rocsolver6v33100L12bdsqr_rotateI19rocblas_complex_numIdEdPS3_S4_S4_EEviiiiT1_iilT2_iilT3_iiliPiPT0_ilS8_.kd
    .uniform_work_group_size: 1
    .uses_dynamic_stack: false
    .vgpr_count:     28
    .vgpr_spill_count: 0
    .wavefront_size: 32
  - .args:
      - .offset:         0
        .size:           4
        .value_kind:     by_value
      - .address_space:  global
        .offset:         8
        .size:           8
        .value_kind:     global_buffer
      - .offset:         16
        .size:           8
        .value_kind:     by_value
      - .address_space:  global
        .offset:         24
        .size:           8
        .value_kind:     global_buffer
      - .address_space:  global
        .offset:         32
        .size:           8
        .value_kind:     global_buffer
      - .offset:         40
        .size:           8
        .value_kind:     by_value
      - .address_space:  global
        .offset:         48
        .size:           8
        .value_kind:     global_buffer
      - .offset:         56
        .size:           4
        .value_kind:     hidden_block_count_x
      - .offset:         60
        .size:           4
        .value_kind:     hidden_block_count_y
      - .offset:         64
        .size:           4
        .value_kind:     hidden_block_count_z
      - .offset:         68
        .size:           2
        .value_kind:     hidden_group_size_x
      - .offset:         70
        .size:           2
        .value_kind:     hidden_group_size_y
      - .offset:         72
        .size:           2
        .value_kind:     hidden_group_size_z
      - .offset:         74
        .size:           2
        .value_kind:     hidden_remainder_x
      - .offset:         76
        .size:           2
        .value_kind:     hidden_remainder_y
      - .offset:         78
        .size:           2
        .value_kind:     hidden_remainder_z
      - .offset:         96
        .size:           8
        .value_kind:     hidden_global_offset_x
      - .offset:         104
        .size:           8
        .value_kind:     hidden_global_offset_y
      - .offset:         112
        .size:           8
        .value_kind:     hidden_global_offset_z
      - .offset:         120
        .size:           2
        .value_kind:     hidden_grid_dims
    .group_segment_fixed_size: 0
    .kernarg_segment_align: 8
    .kernarg_segment_size: 312
    .language:       OpenCL C
    .language_version:
      - 2
      - 0
    .max_flat_workgroup_size: 1024
    .name:           _ZN9rocsolver6v33100L22bdsqr_update_endpointsI19rocblas_complex_numIdEdEEviPT0_lPiS5_lS6_
    .private_segment_fixed_size: 0
    .sgpr_count:     25
    .sgpr_spill_count: 0
    .symbol:         _ZN9rocsolver6v33100L22bdsqr_update_endpointsI19rocblas_complex_numIdEdEEviPT0_lPiS5_lS6_.kd
    .uniform_work_group_size: 1
    .uses_dynamic_stack: false
    .vgpr_count:     12
    .vgpr_spill_count: 0
    .wavefront_size: 32
  - .args:
      - .offset:         0
        .size:           4
        .value_kind:     by_value
      - .offset:         4
        .size:           4
        .value_kind:     by_value
      - .address_space:  global
        .offset:         8
        .size:           8
        .value_kind:     global_buffer
      - .address_space:  global
        .offset:         16
        .size:           8
        .value_kind:     global_buffer
      - .offset:         24
        .size:           8
        .value_kind:     by_value
      - .address_space:  global
        .offset:         32
        .size:           8
        .value_kind:     global_buffer
    .group_segment_fixed_size: 0
    .kernarg_segment_align: 8
    .kernarg_segment_size: 40
    .language:       OpenCL C
    .language_version:
      - 2
      - 0
    .max_flat_workgroup_size: 1024
    .name:           _ZN9rocsolver6v33100L19bdsqr_chk_completedI19rocblas_complex_numIdEdEEviiPiPT0_lS4_
    .private_segment_fixed_size: 0
    .sgpr_count:     22
    .sgpr_spill_count: 0
    .symbol:         _ZN9rocsolver6v33100L19bdsqr_chk_completedI19rocblas_complex_numIdEdEEviiPiPT0_lS4_.kd
    .uniform_work_group_size: 1
    .uses_dynamic_stack: false
    .vgpr_count:     6
    .vgpr_spill_count: 0
    .wavefront_size: 32
  - .args:
      - .offset:         0
        .size:           4
        .value_kind:     by_value
      - .offset:         4
        .size:           4
        .value_kind:     by_value
      - .offset:         8
        .size:           4
        .value_kind:     by_value
      - .offset:         12
        .size:           4
        .value_kind:     by_value
      - .address_space:  global
        .offset:         16
        .size:           8
        .value_kind:     global_buffer
      - .offset:         24
        .size:           8
        .value_kind:     by_value
      - .address_space:  global
        .offset:         32
        .size:           8
        .value_kind:     global_buffer
      - .offset:         40
        .size:           8
        .value_kind:     by_value
      - .address_space:  global
        .offset:         48
        .size:           8
        .value_kind:     global_buffer
      - .offset:         56
        .size:           4
        .value_kind:     by_value
      - .offset:         60
        .size:           4
        .value_kind:     by_value
      - .offset:         64
        .size:           8
        .value_kind:     by_value
      - .address_space:  global
        .offset:         72
        .size:           8
        .value_kind:     global_buffer
      - .offset:         80
        .size:           4
        .value_kind:     by_value
      - .offset:         84
        .size:           4
        .value_kind:     by_value
      - .offset:         88
        .size:           8
        .value_kind:     by_value
      - .address_space:  global
        .offset:         96
        .size:           8
        .value_kind:     global_buffer
      - .offset:         104
        .size:           4
        .value_kind:     by_value
      - .offset:         108
        .size:           4
        .value_kind:     by_value
      - .offset:         112
        .size:           8
        .value_kind:     by_value
      - .address_space:  global
        .offset:         120
        .size:           8
        .value_kind:     global_buffer
      - .address_space:  global
        .offset:         128
        .size:           8
        .value_kind:     global_buffer
      - .address_space:  global
        .offset:         136
        .size:           8
        .value_kind:     global_buffer
      - .offset:         144
        .size:           4
        .value_kind:     hidden_block_count_x
      - .offset:         148
        .size:           4
        .value_kind:     hidden_block_count_y
      - .offset:         152
        .size:           4
        .value_kind:     hidden_block_count_z
      - .offset:         156
        .size:           2
        .value_kind:     hidden_group_size_x
      - .offset:         158
        .size:           2
        .value_kind:     hidden_group_size_y
      - .offset:         160
        .size:           2
        .value_kind:     hidden_group_size_z
      - .offset:         162
        .size:           2
        .value_kind:     hidden_remainder_x
      - .offset:         164
        .size:           2
        .value_kind:     hidden_remainder_y
      - .offset:         166
        .size:           2
        .value_kind:     hidden_remainder_z
      - .offset:         184
        .size:           8
        .value_kind:     hidden_global_offset_x
      - .offset:         192
        .size:           8
        .value_kind:     hidden_global_offset_y
      - .offset:         200
        .size:           8
        .value_kind:     hidden_global_offset_z
      - .offset:         208
        .size:           2
        .value_kind:     hidden_grid_dims
      - .offset:         224
        .size:           8
        .value_kind:     hidden_hostcall_buffer
    .group_segment_fixed_size: 98304
    .kernarg_segment_align: 8
    .kernarg_segment_size: 400
    .language:       OpenCL C
    .language_version:
      - 2
      - 0
    .max_flat_workgroup_size: 1024
    .name:           _ZN9rocsolver6v33100L14bdsqr_finalizeI19rocblas_complex_numIdEdPS3_S4_S4_EEviiiiPT0_lS6_lT1_iilT2_iilT3_iilPiSA_SA_
    .private_segment_fixed_size: 64
    .sgpr_count:     62
    .sgpr_spill_count: 0
    .symbol:         _ZN9rocsolver6v33100L14bdsqr_finalizeI19rocblas_complex_numIdEdPS3_S4_S4_EEviiiiPT0_lS6_lT1_iilT2_iilT3_iilPiSA_SA_.kd
    .uniform_work_group_size: 1
    .uses_dynamic_stack: false
    .vgpr_count:     49
    .vgpr_spill_count: 0
    .wavefront_size: 32
amdhsa.target:   amdgcn-amd-amdhsa--gfx1250
amdhsa.version:
  - 1
  - 2
...

	.end_amdgpu_metadata
